;; amdgpu-corpus repo=ROCm/aiter kind=harvested arch=n/a opt=n/a

/root/src/amdgpu-assembly/repos/ROCm__aiter/hsa/gfx950/fmoe/silu/fmoe_fp16_pertokenMXfp4_g1u1_novs_silu_2tg_ps_2tg_32x256.co:	file format elf64-amdgpu

Disassembly of section .text:

0000000000002e00 <_ZN5aiter56fmoe_fp16_pertokenMXfp4_g1u1_novs_silu_2tg_ps_2tg_32x256E>:
	v_lshrrev_b32_e32 v1, 10, v0                               // 000000002E00: 2002008A
	v_lshrrev_b32_e32 v2, 10, v1                               // 000000002E04: 2004028A
	v_and_b32_e32 v2, 0x3ff, v2                                // 000000002E08: 260404FF 000003FF
	v_and_b32_e32 v1, 0x3ff, v1                                // 000000002E10: 260202FF 000003FF
	v_and_b32_e32 v0, 0x3ff, v0                                // 000000002E18: 260000FF 000003FF
	v_lshrrev_b32_e32 v3, 6, v0                                // 000000002E20: 20060086
	v_and_b32_e32 v0, 63, v0                                   // 000000002E24: 260000BF
	s_mov_b32 s2, s2                                           // 000000002E28: BE820002
	s_mov_b32 s3, s3                                           // 000000002E2C: BE830003
	s_mov_b32 s4, s4                                           // 000000002E30: BE840004
	s_mov_b32 s99, s2                                          // 000000002E34: BEE30002
	v_readfirstlane_b32 s7, v3                                 // 000000002E38: 7E0E0503
	s_and_b32 s1, s1, 0xffff                                   // 000000002E3C: 8601FF01 0000FFFF
	s_mov_b32 s96, 0                                           // 000000002E44: BEE00080
	s_mov_b32 s97, 0                                           // 000000002E48: BEE10080
	s_mov_b32 s100, 0                                          // 000000002E4C: BEE40080
	s_load_dword s96, s[0:1], 0x1a0                            // 000000002E50: C0021800 000001A0
	s_load_dword s97, s[0:1], 0x1b0                            // 000000002E58: C0021840 000001B0
	s_waitcnt lgkmcnt(0)                                       // 000000002E60: BF8CC07F
	s_cmp_eq_u32 s96, 0                                        // 000000002E64: BF068060
	s_cbranch_scc1 label_005C                                  // 000000002E68: BF850041
	v_cvt_f32_u32_e32 v2, s97                                  // 000000002E6C: 7E040C61
	s_sub_i32 s60, 0, s97                                      // 000000002E70: 81BC6180
	v_rcp_iflag_f32_e32 v2, v2                                 // 000000002E74: 7E044702
	s_nop 0                                                    // 000000002E78: BF800000
	v_mul_f32_e32 v2, 0x4f7ffffe, v2                           // 000000002E7C: 0A0404FF 4F7FFFFE
	v_cvt_u32_f32_e32 v2, v2                                   // 000000002E84: 7E040F02
	v_mul_lo_u32 v3, s60, v2                                   // 000000002E88: D2850003 0002043C
	v_mul_hi_u32 v3, v2, v3                                    // 000000002E90: D2860003 00020702
	v_add_u32_e32 v2, v2, v3                                   // 000000002E98: 68040702
	v_mul_hi_u32 v2, s96, v2                                   // 000000002E9C: D2860002 00020460
	v_mul_lo_u32 v3, v2, s97                                   // 000000002EA4: D2850003 0000C302
	v_sub_u32_e32 v5, s96, v3                                  // 000000002EAC: 6A0A0660
	v_add_u32_e32 v4, 1, v2                                    // 000000002EB0: 68080481
	v_cmp_le_u32_e32 vcc, s97, v5                              // 000000002EB4: 7D960A61
	v_subrev_u32_e32 v3, s97, v5                               // 000000002EB8: 6C060A61
	s_nop 0                                                    // 000000002EBC: BF800000
	v_cndmask_b32_e32 v2, v2, v4, vcc                          // 000000002EC0: 00040902
	v_cndmask_b32_e32 v5, v5, v3, vcc                          // 000000002EC4: 000A0705
	v_add_u32_e32 v3, 1, v2                                    // 000000002EC8: 68060481
	v_cmp_le_u32_e32 vcc, s97, v5                              // 000000002ECC: 7D960A61
	s_nop 1                                                    // 000000002ED0: BF800001
	v_cndmask_b32_e32 v5, v2, v3, vcc                          // 000000002ED4: 000A0702
	s_nop 3                                                    // 000000002ED8: BF800003
	v_readfirstlane_b32 s98, v5                                // 000000002EDC: 7EC40505
	s_nop 3                                                    // 000000002EE0: BF800003

0000000000002ee4 <label_0039>:
	s_mov_b32 s4, 0                                            // 000000002EE4: BE840080
	v_cvt_f32_u32_e32 v2, s97                                  // 000000002EE8: 7E040C61
	s_sub_i32 s60, 0, s97                                      // 000000002EEC: 81BC6180
	v_rcp_iflag_f32_e32 v2, v2                                 // 000000002EF0: 7E044702
	s_nop 0                                                    // 000000002EF4: BF800000
	v_mul_f32_e32 v2, 0x4f7ffffe, v2                           // 000000002EF8: 0A0404FF 4F7FFFFE
	v_cvt_u32_f32_e32 v2, v2                                   // 000000002F00: 7E040F02
	v_mul_lo_u32 v3, s60, v2                                   // 000000002F04: D2850003 0002043C
	v_mul_hi_u32 v3, v2, v3                                    // 000000002F0C: D2860003 00020702
	v_add_u32_e32 v2, v2, v3                                   // 000000002F14: 68040702
	v_mul_hi_u32 v2, s99, v2                                   // 000000002F18: D2860002 00020463
	v_mul_lo_u32 v3, v2, s97                                   // 000000002F20: D2850003 0000C302
	v_sub_u32_e32 v5, s99, v3                                  // 000000002F28: 6A0A0663
	v_add_u32_e32 v4, 1, v2                                    // 000000002F2C: 68080481
	v_cmp_le_u32_e32 vcc, s97, v5                              // 000000002F30: 7D960A61
	v_subrev_u32_e32 v3, s97, v5                               // 000000002F34: 6C060A61
	s_nop 0                                                    // 000000002F38: BF800000
	v_cndmask_b32_e32 v2, v2, v4, vcc                          // 000000002F3C: 00040902
	v_cndmask_b32_e32 v5, v5, v3, vcc                          // 000000002F40: 000A0705
	v_add_u32_e32 v3, 1, v2                                    // 000000002F44: 68060481
	v_cmp_le_u32_e32 vcc, s97, v5                              // 000000002F48: 7D960A61
	s_nop 1                                                    // 000000002F4C: BF800001
	v_cndmask_b32_e32 v5, v2, v3, vcc                          // 000000002F50: 000A0702
	s_nop 3                                                    // 000000002F54: BF800003
	v_readfirstlane_b32 s3, v5                                 // 000000002F58: 7E060505
	s_nop 3                                                    // 000000002F5C: BF800003
	s_mul_i32 s60, s3, s97                                     // 000000002F60: 923C6103
	s_sub_u32 s2, s99, s60                                     // 000000002F64: 80823C63
	s_mul_i32 s60, s98, s100                                   // 000000002F68: 923C6462
	s_add_i32 s3, s3, s60                                      // 000000002F6C: 81033C03

0000000000002f70 <label_005C>:
	s_and_b32 s1, s1, 0xffff                                   // 000000002F70: 8601FF01 0000FFFF
	s_load_dwordx2 s[8:9], s[0:1], 0x0                         // 000000002F78: C0060200 00000000
	s_load_dwordx2 s[20:21], s[0:1], 0x10                      // 000000002F80: C0060500 00000010
	s_load_dwordx2 s[24:25], s[0:1], 0x20                      // 000000002F88: C0060600 00000020
	s_load_dwordx2 s[50:51], s[0:1], 0x30                      // 000000002F90: C0060C80 00000030
	s_load_dwordx2 s[12:13], s[0:1], 0x40                      // 000000002F98: C0060300 00000040
	s_load_dwordx2 s[28:29], s[0:1], 0x50                      // 000000002FA0: C0060700 00000050
	s_load_dwordx2 s[32:33], s[0:1], 0x60                      // 000000002FA8: C0060800 00000060
	s_load_dwordx2 s[16:17], s[0:1], 0x70                      // 000000002FB0: C0060400 00000070
	s_load_dwordx2 s[36:37], s[0:1], 0x80                      // 000000002FB8: C0060900 00000080
	s_load_dwordx2 s[44:45], s[0:1], 0x90                      // 000000002FC0: C0060B00 00000090
	s_load_dwordx2 s[40:41], s[0:1], 0xa0                      // 000000002FC8: C0060A00 000000A0
	s_load_dwordx2 s[46:47], s[0:1], 0xb0                      // 000000002FD0: C0060B80 000000B0
	s_load_dword s64, s[0:1], 0xc0                             // 000000002FD8: C0021000 000000C0
	s_load_dword s65, s[0:1], 0xd0                             // 000000002FE0: C0021040 000000D0
	s_load_dword s67, s[0:1], 0xf0                             // 000000002FE8: C00210C0 000000F0
	s_load_dword s68, s[0:1], 0x100                            // 000000002FF0: C0021100 00000100
	s_load_dword s69, s[0:1], 0x110                            // 000000002FF8: C0021140 00000110
	s_load_dword s70, s[0:1], 0x120                            // 000000003000: C0021180 00000120
	s_load_dword s71, s[0:1], 0x130                            // 000000003008: C00211C0 00000130
	s_load_dword s72, s[0:1], 0x140                            // 000000003010: C0021200 00000140
	s_load_dword s73, s[0:1], 0x150                            // 000000003018: C0021240 00000150
	s_load_dword s74, s[0:1], 0x160                            // 000000003020: C0021280 00000160
	s_load_dword s75, s[0:1], 0x170                            // 000000003028: C00212C0 00000170
	s_load_dword s76, s[0:1], 0x180                            // 000000003030: C0021300 00000180
	s_mov_b32 s2, s2                                           // 000000003038: BE820002
	s_mov_b32 s3, s3                                           // 00000000303C: BE830003
	s_mov_b32 s4, s4                                           // 000000003040: BE840004
	s_waitcnt lgkmcnt(0)                                       // 000000003044: BF8CC07F
	s_and_b32 s51, s51, 0xffff                                 // 000000003048: 8633FF33 0000FFFF
	s_load_dword s66, s[50:51], 0x4                            // 000000003050: C0021099 00000004
	s_load_dword s50, s[50:51], 0x0                            // 000000003058: C0020C99 00000000
	s_waitcnt lgkmcnt(0)                                       // 000000003060: BF8CC07F
	s_and_b32 s45, s45, 0xffff                                 // 000000003064: 862DFF2D 0000FFFF
	s_and_b32 s47, s47, 0xffff                                 // 00000000306C: 862FFF2F 0000FFFF
	s_and_b32 s9, s9, 0xffff                                   // 000000003074: 8609FF09 0000FFFF
	s_mul_i32 s60, s66, s68                                    // 00000000307C: 923C4442
	s_mov_b32 s22, s60                                         // 000000003080: BE96003C
	s_mov_b32 s26, -16                                         // 000000003084: BE9A00D0
	s_mov_b32 s14, -16                                         // 000000003088: BE8E00D0
	s_mov_b32 s42, -16                                         // 00000000308C: BEAA00D0
	s_mov_b32 s30, -16                                         // 000000003090: BE9E00D0
	s_mov_b32 s34, -16                                         // 000000003094: BEA200D0
	s_mov_b32 s38, -16                                         // 000000003098: BEA600D0
	s_mov_b32 s18, -16                                         // 00000000309C: BE9200D0
	s_mul_i32 s60, s66, s71                                    // 0000000030A0: 923C4742
	s_mov_b32 s10, s60                                         // 0000000030A4: BE8A003C
	s_mov_b32 s23, 0x20000                                     // 0000000030A8: BE9700FF 00020000
	s_mov_b32 s27, 0x20000                                     // 0000000030B0: BE9B00FF 00020000
	s_mov_b32 s15, 0x20000                                     // 0000000030B8: BE8F00FF 00020000
	s_mov_b32 s43, 0x20000                                     // 0000000030C0: BEAB00FF 00020000
	s_mov_b32 s31, 0x20000                                     // 0000000030C8: BE9F00FF 00020000
	s_mov_b32 s35, 0x20000                                     // 0000000030D0: BEA300FF 00020000
	s_mov_b32 s39, 0x20000                                     // 0000000030D8: BEA700FF 00020000
	s_mov_b32 s19, 0x20000                                     // 0000000030E0: BE9300FF 00020000
	s_mov_b32 s11, 0x20000                                     // 0000000030E8: BE8B00FF 00020000
	s_and_b32 s21, s21, 0xffff                                 // 0000000030F0: 8615FF15 0000FFFF
	s_and_b32 s25, s25, 0xffff                                 // 0000000030F8: 8619FF19 0000FFFF
	s_and_b32 s13, s13, 0xffff                                 // 000000003100: 860DFF0D 0000FFFF
	s_and_b32 s41, s41, 0xffff                                 // 000000003108: 8629FF29 0000FFFF
	s_and_b32 s29, s29, 0xffff                                 // 000000003110: 861DFF1D 0000FFFF
	s_and_b32 s33, s33, 0xffff                                 // 000000003118: 8621FF21 0000FFFF
	s_and_b32 s37, s37, 0xffff                                 // 000000003120: 8625FF25 0000FFFF
	s_and_b32 s17, s17, 0xffff                                 // 000000003128: 8611FF11 0000FFFF
	s_or_b32 s21, s21, 0x40000                                 // 000000003130: 8715FF15 00040000
	s_or_b32 s25, s25, 0x40000                                 // 000000003138: 8719FF19 00040000
	s_or_b32 s13, s13, 0x40000                                 // 000000003140: 870DFF0D 00040000
	s_or_b32 s41, s41, 0x40000                                 // 000000003148: 8729FF29 00040000
	s_or_b32 s29, s29, 0x40000                                 // 000000003150: 871DFF1D 00040000
	s_or_b32 s33, s33, 0x40000                                 // 000000003158: 8721FF21 00040000
	s_or_b32 s37, s37, 0x40000                                 // 000000003160: 8725FF25 00040000
	s_or_b32 s17, s17, 0x40000                                 // 000000003168: 8711FF11 00040000
	v_accvgpr_write_b32 a63, 0                                 // 000000003170: D3D9403F 18000080
	v_mov_b32_e32 v171, 0                                      // 000000003178: 7F560280
	s_waitcnt lgkmcnt(0)                                       // 00000000317C: BF8CC07F
	s_mul_i32 s60, s3, 32                                      // 000000003180: 923CA003
	s_cmp_lt_i32 s60, s50                                      // 000000003184: BF04323C
	s_cbranch_scc0 label_11D0                                  // 000000003188: BF8410ED
	s_mov_b32 s80, 0                                           // 00000000318C: BED00080
	s_mov_b32 s81, s64                                         // 000000003190: BED10040
	s_mul_i32 s60, s3, 4                                       // 000000003194: 923C8403
	s_add_u32 s46, s60, s46                                    // 000000003198: 802E2E3C
	s_addc_u32 s47, 0, s47                                     // 00000000319C: 822F2F80
	s_load_dword s5, s[46:47], 0x0                             // 0000000031A0: C0020157 00000000
	s_mul_i32 s60, s3, 32                                      // 0000000031A8: 923CA003
	s_lshr_b32 s61, s7, 1                                      // 0000000031AC: 8F3D8107
	s_mul_i32 s61, s61, 8                                      // 0000000031B0: 923D883D
	s_add_u32 s60, s61, s60                                    // 0000000031B4: 803C3C3D
	s_and_b32 s61, s7, 1                                       // 0000000031B8: 863D8107
	s_mul_i32 s61, s61, 2                                      // 0000000031BC: 923D823D
	s_add_u32 s60, s61, s60                                    // 0000000031C0: 803C3C3D
	s_mul_i32 s60, 4, s60                                      // 0000000031C4: 923C3C84
	s_add_u32 s44, s60, s44                                    // 0000000031C8: 802C2C3C
	s_addc_u32 s45, 0, s45                                     // 0000000031CC: 822D2D80
	s_load_dword s82, s[44:45], 0x0                            // 0000000031D0: C0021496 00000000
	s_load_dword s83, s[44:45], 0x4                            // 0000000031D8: C00214D6 00000004
	s_load_dword s84, s[44:45], 0x10                           // 0000000031E0: C0021516 00000010
	s_load_dword s85, s[44:45], 0x14                           // 0000000031E8: C0021556 00000014
	s_load_dword s86, s[44:45], 0x40                           // 0000000031F0: C0021596 00000040
	s_load_dword s87, s[44:45], 0x44                           // 0000000031F8: C00215D6 00000044
	s_load_dword s88, s[44:45], 0x50                           // 000000003200: C0021616 00000050
	s_load_dword s89, s[44:45], 0x54                           // 000000003208: C0021656 00000054
	s_waitcnt lgkmcnt(0)                                       // 000000003210: BF8CC07F
	s_and_b32 s82, s82, 0xffffff                               // 000000003214: 8652FF52 00FFFFFF
	s_mul_i32 s62, s82, s68                                    // 00000000321C: 923E4452
	s_lshl_b32 s60, 0xff, 0                                    // 000000003220: 8E3C80FF 000000FF
	s_mov_b32 s61, 0                                           // 000000003228: BEBD0080
	s_mov_b64 exec, s[60:61]                                   // 00000000322C: BEFE013C
	v_mov_b32_e32 v35, s62                                     // 000000003230: 7E46023E
	s_and_b32 s83, s83, 0xffffff                               // 000000003234: 8653FF53 00FFFFFF
	s_mul_i32 s62, s83, s68                                    // 00000000323C: 923E4453
	s_lshl_b32 s60, 0xff, 8                                    // 000000003240: 8E3C88FF 000000FF
	s_mov_b64 exec, s[60:61]                                   // 000000003248: BEFE013C
	v_mov_b32_e32 v35, s62                                     // 00000000324C: 7E46023E
	s_and_b32 s84, s84, 0xffffff                               // 000000003250: 8654FF54 00FFFFFF
	s_mul_i32 s62, s84, s68                                    // 000000003258: 923E4454
	s_lshl_b32 s60, 0xff, 16                                   // 00000000325C: 8E3C90FF 000000FF
	s_mov_b64 exec, s[60:61]                                   // 000000003264: BEFE013C
	v_mov_b32_e32 v35, s62                                     // 000000003268: 7E46023E
	s_and_b32 s85, s85, 0xffffff                               // 00000000326C: 8655FF55 00FFFFFF
	s_mul_i32 s62, s85, s68                                    // 000000003274: 923E4455
	s_lshl_b32 s60, 0xff, 24                                   // 000000003278: 8E3C98FF 000000FF
	s_mov_b64 exec, s[60:61]                                   // 000000003280: BEFE013C
	v_mov_b32_e32 v35, s62                                     // 000000003284: 7E46023E
	s_and_b32 s86, s86, 0xffffff                               // 000000003288: 8656FF56 00FFFFFF
	s_mul_i32 s62, s86, s68                                    // 000000003290: 923E4456
	s_lshl_b32 s61, 0xff, 0                                    // 000000003294: 8E3D80FF 000000FF
	s_mov_b32 s60, 0                                           // 00000000329C: BEBC0080
	s_mov_b64 exec, s[60:61]                                   // 0000000032A0: BEFE013C
	v_mov_b32_e32 v35, s62                                     // 0000000032A4: 7E46023E
	s_and_b32 s87, s87, 0xffffff                               // 0000000032A8: 8657FF57 00FFFFFF
	s_mul_i32 s62, s87, s68                                    // 0000000032B0: 923E4457
	s_lshl_b32 s61, 0xff, 8                                    // 0000000032B4: 8E3D88FF 000000FF
	s_mov_b64 exec, s[60:61]                                   // 0000000032BC: BEFE013C
	v_mov_b32_e32 v35, s62                                     // 0000000032C0: 7E46023E
	s_and_b32 s88, s88, 0xffffff                               // 0000000032C4: 8658FF58 00FFFFFF
	s_mul_i32 s62, s88, s68                                    // 0000000032CC: 923E4458
	s_lshl_b32 s61, 0xff, 16                                   // 0000000032D0: 8E3D90FF 000000FF
	s_mov_b64 exec, s[60:61]                                   // 0000000032D8: BEFE013C
	v_mov_b32_e32 v35, s62                                     // 0000000032DC: 7E46023E
	s_and_b32 s89, s89, 0xffffff                               // 0000000032E0: 8659FF59 00FFFFFF
	s_mul_i32 s62, s89, s68                                    // 0000000032E8: 923E4459
	s_lshl_b32 s61, 0xff, 24                                   // 0000000032EC: 8E3D98FF 000000FF
	s_mov_b64 exec, s[60:61]                                   // 0000000032F4: BEFE013C
	v_mov_b32_e32 v35, s62                                     // 0000000032F8: 7E46023E
	s_mov_b32 s60, -1                                          // 0000000032FC: BEBC00C1
	s_mov_b32 s61, -1                                          // 000000003300: BEBD00C1
	s_mov_b64 exec, s[60:61]                                   // 000000003304: BEFE013C
	v_and_b32_e64 v2, v0, 7                                    // 000000003308: D1130002 00010F00
	v_lshlrev_b32_e32 v2, 4, v2                                // 000000003310: 24040484
	v_add_u32_e32 v35, v35, v2                                 // 000000003314: 68460523
	s_mov_b32 s62, 0x80                                        // 000000003318: BEBE00FF 00000080
	v_add_u32_e64 v36, v35, s62                                // 000000003320: D1340024 00007D23
	v_lshlrev_b32_e32 v2, 2, v0                                // 000000003328: 24040082
	s_mul_i32 s60, s82, s71                                    // 00000000332C: 923C4752
	v_add_u32_e64 v92, v2, s60                                 // 000000003330: D134005C 00007902
	v_mov_b32_e32 v93, 0                                       // 000000003338: 7EBA0280
	s_mul_i32 s60, s83, s71                                    // 00000000333C: 923C4753
	v_add_u32_e64 v94, v2, s60                                 // 000000003340: D134005E 00007902
	v_mov_b32_e32 v95, 0                                       // 000000003348: 7EBE0280
	s_mul_i32 s60, s84, s71                                    // 00000000334C: 923C4754
	v_add_u32_e64 v96, v2, s60                                 // 000000003350: D1340060 00007902
	v_mov_b32_e32 v97, 0                                       // 000000003358: 7EC20280
	s_mul_i32 s60, s85, s71                                    // 00000000335C: 923C4755
	v_add_u32_e64 v98, v2, s60                                 // 000000003360: D1340062 00007902
	v_mov_b32_e32 v99, 0                                       // 000000003368: 7EC60280
	s_mul_i32 s60, s86, s71                                    // 00000000336C: 923C4756
	v_add_u32_e64 v100, v2, s60                                // 000000003370: D1340064 00007902
	v_mov_b32_e32 v101, 0                                      // 000000003378: 7ECA0280
	s_mul_i32 s60, s87, s71                                    // 00000000337C: 923C4757
	v_add_u32_e64 v102, v2, s60                                // 000000003380: D1340066 00007902
	v_mov_b32_e32 v103, 0                                      // 000000003388: 7ECE0280
	s_mul_i32 s60, s88, s71                                    // 00000000338C: 923C4758
	v_add_u32_e64 v104, v2, s60                                // 000000003390: D1340068 00007902
	v_mov_b32_e32 v105, 0                                      // 000000003398: 7ED20280
	s_mul_i32 s60, s89, s71                                    // 00000000339C: 923C4759
	v_add_u32_e64 v106, v2, s60                                // 0000000033A0: D134006A 00007902
	v_mov_b32_e32 v107, 0                                      // 0000000033A8: 7ED60280
	s_mul_i32 s60, s7, 0x420                                   // 0000000033AC: 923CFF07 00000420
	s_add_u32 s50, 0, s60                                      // 0000000033B4: 80323C80
	s_add_u32 s51, 0x1080, s50                                 // 0000000033B8: 803332FF 00001080
	v_and_b32_e32 v2, 15, v0                                   // 0000000033C0: 2604008F
	v_lshrrev_b32_e32 v3, 3, v2                                // 0000000033C4: 20060483
	v_mul_lo_u32 v3, 2, v3                                     // 0000000033C8: D2850003 00020682
	v_and_b32_e32 v2, 3, v0                                    // 0000000033D0: 26040083
	v_lshrrev_b32_e32 v4, 1, v2                                // 0000000033D4: 20080481
	v_add_u32_e32 v2, v3, v4                                   // 0000000033D8: 68040903
	v_mul_i32_i24_e32 v6, 0x420, v2                            // 0000000033DC: 0C0C04FF 00000420
	v_and_b32_e32 v2, 7, v0                                    // 0000000033E4: 26040087
	v_lshrrev_b32_e32 v3, 2, v2                                // 0000000033E8: 20060482
	v_mul_i32_i24_e32 v3, 0x100, v3                            // 0000000033EC: 0C0606FF 00000100
	v_and_b32_e32 v2, 1, v0                                    // 0000000033F4: 26040081
	v_mul_i32_i24_e32 v4, 0x80, v2                             // 0000000033F8: 0C0804FF 00000080
	v_add_u32_e32 v6, v3, v6                                   // 000000003400: 680C0D03
	v_add_u32_e32 v6, v4, v6                                   // 000000003404: 680C0D04
	v_lshrrev_b32_e32 v2, 4, v0                                // 000000003408: 20040084
	v_mul_lo_u32 v2, 16, v2                                    // 00000000340C: D2850002 00020490
	v_add_u32_e32 v6, v2, v6                                   // 000000003414: 680C0D02
	s_mul_i32 s60, s2, 0x100                                   // 000000003418: 923CFF02 00000100
	s_mul_i32 s60, s60, s69                                    // 000000003420: 923C453C
	s_mul_i32 s61, s5, s72                                     // 000000003424: 923D4805
	s_add_u32 s60, s61, s60                                    // 000000003428: 803C3C3D
	s_add_u32 s24, s60, s24                                    // 00000000342C: 8018183C
	s_addc_u32 s25, 0, s25                                     // 000000003430: 82191980
	s_mul_i32 s60, s7, 32                                      // 000000003434: 923CA007
	s_mul_i32 s60, s60, s69                                    // 000000003438: 923C453C
	v_lshlrev_b32_e32 v36, 4, v0                               // 00000000343C: 24480084
	v_add_u32_e32 v36, s60, v36                                // 000000003440: 6848483C
	s_mul_i32 s60, 16, s69                                     // 000000003444: 923C4590
	v_add_u32_e32 v37, s60, v36                                // 000000003448: 684A483C
	s_mul_i32 s60, 0x80, s69                                   // 00000000344C: 923C45FF 00000080
	v_add_u32_e32 v38, s60, v36                                // 000000003454: 684C483C
	v_add_u32_e32 v39, s60, v37                                // 000000003458: 684E4A3C
	s_mov_b32 s92, s24                                         // 00000000345C: BEDC0018
	s_mov_b32 s93, s25                                         // 000000003460: BEDD0019
	s_mov_b32 s94, s26                                         // 000000003464: BEDE001A
	s_mov_b32 s95, s27                                         // 000000003468: BEDF001B
	s_mul_i32 s60, s69, s65                                    // 00000000346C: 923C4145
	s_add_u32 s92, s60, s92                                    // 000000003470: 805C5C3C
	s_addc_u32 s93, 0, s93                                     // 000000003474: 825D5D80
	s_mul_i32 s60, s2, 0x800                                   // 000000003478: 923CFF02 00000800
	s_mul_i32 s61, s5, s73                                     // 000000003480: 923D4905
	s_add_u32 s60, s61, s60                                    // 000000003484: 803C3C3D
	s_add_u32 s12, s60, s12                                    // 000000003488: 800C0C3C
	s_addc_u32 s13, 0, s13                                     // 00000000348C: 820D0D80
	s_mul_i32 s60, s7, 32                                      // 000000003490: 923CA007
	s_mul_i32 s60, s60, s70                                    // 000000003494: 923C463C
	v_lshlrev_b32_e32 v40, 4, v0                               // 000000003498: 24500084
	v_add_u32_e32 v40, s60, v40                                // 00000000349C: 6850503C
	s_mul_i32 s60, 16, s70                                     // 0000000034A0: 923C4690
	v_add_u32_e32 v41, s60, v40                                // 0000000034A4: 6852503C
	s_mul_i32 s60, 0x80, s70                                   // 0000000034A8: 923C46FF 00000080
	v_add_u32_e32 v42, s60, v40                                // 0000000034B0: 6854503C
	v_add_u32_e32 v43, s60, v41                                // 0000000034B4: 6856523C
	s_mul_i32 s56, s70, 0x100                                  // 0000000034B8: 9238FF46 00000100
	s_mul_i32 s60, s3, 32                                      // 0000000034C0: 923CA003
	s_mul_i32 s60, 4, s60                                      // 0000000034C4: 923C3C84
	s_add_u32 s40, s60, s40                                    // 0000000034C8: 8028283C
	s_addc_u32 s41, 0, s41                                     // 0000000034CC: 82292980
	v_and_b32_e32 v2, 15, v0                                   // 0000000034D0: 2604008F
	v_lshlrev_b32_e32 v13, 2, v2                               // 0000000034D4: 241A0482
	v_add_u32_e32 v14, 64, v13                                 // 0000000034D8: 681C1AC0
	s_mov_b32 s4, 0x100                                        // 0000000034DC: BE8400FF 00000100
	v_lshlrev_b32_e32 v15, 2, v0                               // 0000000034E4: 241E0082
	s_lshr_b32 s61, s64, 5                                     // 0000000034E8: 8F3D8540
	s_mul_i32 s60, s7, 32                                      // 0000000034EC: 923CA007
	s_mul_i32 s60, s61, s60                                    // 0000000034F0: 923C3C3D
	v_add_u32_e64 v15, v15, s60                                // 0000000034F4: D134000F 0000790F
	s_mul_i32 s60, s65, s61                                    // 0000000034FC: 923C3D41
	v_add_u32_e64 v17, v15, s60                                // 000000003500: D1340011 0000790F
	s_mul_i32 s60, s61, 0x80                                   // 000000003508: 923CFF3D 00000080
	v_add_u32_e64 v16, v15, s60                                // 000000003510: D1340010 0000790F
	v_add_u32_e64 v18, v17, s60                                // 000000003518: D1340012 00007911
	s_mul_i32 s60, s2, 0x100                                   // 000000003520: 923CFF02 00000100
	s_mul_i32 s60, s60, s61                                    // 000000003528: 923C3D3C
	s_mul_i32 s61, s5, s74                                     // 00000000352C: 923D4A05
	s_add_u32 s61, s61, s60                                    // 000000003530: 803D3C3D
	s_add_u32 s32, s61, s32                                    // 000000003534: 8020203D
	s_addc_u32 s33, 0, s33                                     // 000000003538: 82212180
	v_lshlrev_b32_e32 v10, 2, v0                               // 00000000353C: 24140082
	s_lshr_b32 s60, s65, 5                                     // 000000003540: 8F3C8541
	s_mul_i32 s61, s7, 32                                      // 000000003544: 923DA007
	s_mul_i32 s61, s61, s60                                    // 000000003548: 923D3C3D
	v_add_u32_e32 v10, s61, v10                                // 00000000354C: 6814143D
	s_mul_i32 s60, s60, 0x80                                   // 000000003550: 923CFF3C 00000080
	v_add_u32_e64 v11, v10, s60                                // 000000003558: D134000B 0000790A
	s_mul_i32 s60, s2, 0x100                                   // 000000003560: 923CFF02 00000100
	s_mul_i32 s61, s5, s75                                     // 000000003568: 923D4B05
	s_add_u32 s60, s60, s61                                    // 00000000356C: 803C3D3C
	s_add_u32 s16, s60, s16                                    // 000000003570: 8010103C
	s_addc_u32 s17, 0, s17                                     // 000000003574: 82111180
	s_mov_b32 s57, 0x80                                        // 000000003578: BEB900FF 00000080
	s_mov_b32 s58, 0x800                                       // 000000003580: BEBA00FF 00000800
	s_lshr_b32 s60, s65, 5                                     // 000000003588: 8F3C8541
	s_mul_i32 s79, s60, 0x100                                  // 00000000358C: 924FFF3C 00000100
	s_mov_b32 s59, 0                                           // 000000003594: BEBB0080
	s_mov_b32 s90, s58                                         // 000000003598: BEDA003A
	s_mov_b32 s52, 0x7060302                                   // 00000000359C: BEB400FF 07060302
	s_mov_b32 s53, 0x400                                       // 0000000035A4: BEB500FF 00000400
	s_mov_b32 s54, 0x40100                                     // 0000000035AC: BEB600FF 00040100
	s_mov_b32 s55, 0x4020100                                   // 0000000035B4: BEB700FF 04020100
	s_mov_b32 s6, 0x3fb8aa3b                                   // 0000000035BC: BE8600FF 3FB8AA3B
	s_mov_b32 s77, 0xbd92220c                                  // 0000000035C4: BECD00FF BD92220C
	s_mov_b32 m0, s50                                          // 0000000035CC: BEFC0032
	s_mul_i32 s60, s3, 32                                      // 0000000035D0: 923CA003
	s_mul_i32 s60, s64, s60                                    // 0000000035D4: 923C3C40
	s_lshr_b32 s60, s60, 5                                     // 0000000035D8: 8F3C853C
	s_add_u32 s28, s60, s28                                    // 0000000035DC: 801C1C3C
	s_addc_u32 s29, 0, s29                                     // 0000000035E0: 821D1D80
	v_lshlrev_b32_e32 v12, 2, v0                               // 0000000035E4: 24180082
	s_mov_b32 s3, 0x100                                        // 0000000035E8: BE8300FF 00000100
	buffer_load_dword v21, v15, s[32:35], 0 offen              // 0000000035F0: E0501000 8008150F
	buffer_load_dword v22, v16, s[32:35], 0 offen              // 0000000035F8: E0501000 80081610
	buffer_load_dword v29, v13, s[40:43], 0 offen              // 000000003600: E0501000 800A1D0D
	buffer_load_dword v30, v14, s[40:43], 0 offen              // 000000003608: E0501000 800A1E0E
	buffer_load_dwordx4 v35, s[20:23], 0 offen lds             // 000000003610: E05D1000 80050023
	s_add_u32 m0, 0, s51                                       // 000000003618: 807C3380
	buffer_load_dword v19, v12, s[28:31], 0 offen              // 00000000361C: E0501000 8007130C
	s_add_u32 s20, s57, s20                                    // 000000003624: 80141439
	s_addc_u32 s21, 0, s21                                     // 000000003628: 82151580
	s_add_u32 s28, s3, s28                                     // 00000000362C: 801C1C03
	s_addc_u32 s29, 0, s29                                     // 000000003630: 821D1D80
	buffer_load_dwordx4 a[0:3], v36, s[24:27], 0 offen         // 000000003634: E05C1000 80860024
	buffer_load_dwordx4 a[4:7], v37, s[24:27], 0 offen         // 00000000363C: E05C1000 80860425
	buffer_load_dwordx4 a[8:11], v38, s[24:27], 0 offen        // 000000003644: E05C1000 80860826
	buffer_load_dwordx4 a[12:15], v39, s[24:27], 0 offen       // 00000000364C: E05C1000 80860C27
	buffer_load_dwordx4 a[16:19], v36, s[24:27], 0 offen offset:1024// 000000003654: E05C1400 80861024
	buffer_load_dwordx4 a[20:23], v37, s[24:27], 0 offen offset:1024// 00000000365C: E05C1400 80861425
	buffer_load_dwordx4 a[24:27], v38, s[24:27], 0 offen offset:1024// 000000003664: E05C1400 80861826
	buffer_load_dwordx4 a[28:31], v39, s[24:27], 0 offen offset:1024// 00000000366C: E05C1400 80861C27
	s_add_u32 s24, s58, s24                                    // 000000003674: 8018183A
	s_addc_u32 s25, 0, s25                                     // 000000003678: 82191980
	v_mov_b32_e32 v44, 0                                       // 00000000367C: 7E580280
	v_mov_b32_e32 v76, 0                                       // 000000003680: 7E980280
	v_mov_b32_e32 v45, 0                                       // 000000003684: 7E5A0280
	v_mov_b32_e32 v77, 0                                       // 000000003688: 7E9A0280
	v_mov_b32_e32 v46, 0                                       // 00000000368C: 7E5C0280
	v_mov_b32_e32 v78, 0                                       // 000000003690: 7E9C0280
	v_mov_b32_e32 v47, 0                                       // 000000003694: 7E5E0280
	v_mov_b32_e32 v79, 0                                       // 000000003698: 7E9E0280
	v_mov_b32_e32 v48, 0                                       // 00000000369C: 7E600280
	v_mov_b32_e32 v80, 0                                       // 0000000036A0: 7EA00280
	v_mov_b32_e32 v49, 0                                       // 0000000036A4: 7E620280
	v_mov_b32_e32 v81, 0                                       // 0000000036A8: 7EA20280
	v_mov_b32_e32 v50, 0                                       // 0000000036AC: 7E640280
	v_mov_b32_e32 v82, 0                                       // 0000000036B0: 7EA40280
	v_mov_b32_e32 v51, 0                                       // 0000000036B4: 7E660280
	v_mov_b32_e32 v83, 0                                       // 0000000036B8: 7EA60280
	v_mov_b32_e32 v52, 0                                       // 0000000036BC: 7E680280
	v_mov_b32_e32 v84, 0                                       // 0000000036C0: 7EA80280
	v_mov_b32_e32 v53, 0                                       // 0000000036C4: 7E6A0280
	v_mov_b32_e32 v85, 0                                       // 0000000036C8: 7EAA0280
	v_mov_b32_e32 v54, 0                                       // 0000000036CC: 7E6C0280
	v_mov_b32_e32 v86, 0                                       // 0000000036D0: 7EAC0280
	v_mov_b32_e32 v55, 0                                       // 0000000036D4: 7E6E0280
	v_mov_b32_e32 v87, 0                                       // 0000000036D8: 7EAE0280
	v_mov_b32_e32 v56, 0                                       // 0000000036DC: 7E700280
	v_mov_b32_e32 v88, 0                                       // 0000000036E0: 7EB00280
	v_mov_b32_e32 v57, 0                                       // 0000000036E4: 7E720280
	v_mov_b32_e32 v89, 0                                       // 0000000036E8: 7EB20280
	v_mov_b32_e32 v58, 0                                       // 0000000036EC: 7E740280
	v_mov_b32_e32 v90, 0                                       // 0000000036F0: 7EB40280
	v_mov_b32_e32 v59, 0                                       // 0000000036F4: 7E760280
	v_mov_b32_e32 v91, 0                                       // 0000000036F8: 7EB60280
	v_mov_b32_e32 v60, 0                                       // 0000000036FC: 7E780280
	v_mov_b32_e32 v92, 0                                       // 000000003700: 7EB80280
	v_mov_b32_e32 v61, 0                                       // 000000003704: 7E7A0280
	v_mov_b32_e32 v93, 0                                       // 000000003708: 7EBA0280
	v_mov_b32_e32 v62, 0                                       // 00000000370C: 7E7C0280
	v_mov_b32_e32 v94, 0                                       // 000000003710: 7EBC0280
	v_mov_b32_e32 v63, 0                                       // 000000003714: 7E7E0280
	v_mov_b32_e32 v95, 0                                       // 000000003718: 7EBE0280
	v_mov_b32_e32 v64, 0                                       // 00000000371C: 7E800280
	v_mov_b32_e32 v96, 0                                       // 000000003720: 7EC00280
	v_mov_b32_e32 v65, 0                                       // 000000003724: 7E820280
	v_mov_b32_e32 v97, 0                                       // 000000003728: 7EC20280
	v_mov_b32_e32 v66, 0                                       // 00000000372C: 7E840280
	v_mov_b32_e32 v98, 0                                       // 000000003730: 7EC40280
	v_mov_b32_e32 v67, 0                                       // 000000003734: 7E860280
	v_mov_b32_e32 v99, 0                                       // 000000003738: 7EC60280
	v_mov_b32_e32 v68, 0                                       // 00000000373C: 7E880280
	v_mov_b32_e32 v100, 0                                      // 000000003740: 7EC80280
	v_mov_b32_e32 v69, 0                                       // 000000003744: 7E8A0280
	v_mov_b32_e32 v101, 0                                      // 000000003748: 7ECA0280
	v_mov_b32_e32 v70, 0                                       // 00000000374C: 7E8C0280
	v_mov_b32_e32 v102, 0                                      // 000000003750: 7ECC0280
	v_mov_b32_e32 v71, 0                                       // 000000003754: 7E8E0280
	v_mov_b32_e32 v103, 0                                      // 000000003758: 7ECE0280
	v_mov_b32_e32 v72, 0                                       // 00000000375C: 7E900280
	v_mov_b32_e32 v104, 0                                      // 000000003760: 7ED00280
	v_mov_b32_e32 v73, 0                                       // 000000003764: 7E920280
	v_mov_b32_e32 v105, 0                                      // 000000003768: 7ED20280
	v_mov_b32_e32 v74, 0                                       // 00000000376C: 7E940280
	v_mov_b32_e32 v106, 0                                      // 000000003770: 7ED40280
	v_mov_b32_e32 v75, 0                                       // 000000003774: 7E960280
	v_mov_b32_e32 v107, 0                                      // 000000003778: 7ED60280
	v_lshrrev_b32_e32 v2, 4, v0                                // 00000000377C: 20040084
	v_mul_lo_u32 v8, 34, v2                                    // 000000003780: D2850008 000204A2
	v_and_b32_e32 v2, 15, v0                                   // 000000003788: 2604008F
	v_mul_lo_u32 v3, 2, v2                                     // 00000000378C: D2850003 00020482
	v_add_u32_e32 v8, v3, v8                                   // 000000003794: 68101103
	s_mul_i32 s60, s7, 0x110                                   // 000000003798: 923CFF07 00000110
	v_add_u32_e32 v8, s60, v8                                  // 0000000037A0: 6810103C
	v_lshlrev_b32_e32 v8, 2, v8                                // 0000000037A4: 24101082
	v_lshrrev_b32_e32 v2, 1, v0                                // 0000000037A8: 20040081
	v_mul_lo_u32 v9, 34, v2                                    // 0000000037AC: D2850009 000204A2
	v_and_b32_e32 v3, 1, v0                                    // 0000000037B4: 26060081
	v_add_u32_e32 v9, v3, v9                                   // 0000000037B8: 68121303
	s_lshr_b32 s60, s7, 1                                      // 0000000037BC: 8F3C8107
	s_mul_i32 s60, s60, 8                                      // 0000000037C0: 923C883C
	s_and_b32 s61, s7, 1                                       // 0000000037C4: 863D8107
	s_mul_i32 s61, s61, 2                                      // 0000000037C8: 923D823D
	s_add_u32 s60, s61, s60                                    // 0000000037CC: 803C3C3D
	s_mul_i32 s60, 2, s60                                      // 0000000037D0: 923C3C82
	v_add_u32_e32 v9, s60, v9                                  // 0000000037D4: 6812123C
	v_lshlrev_b32_e32 v9, 2, v9                                // 0000000037D8: 24121282
	s_waitcnt vmcnt(8)                                         // 0000000037DC: BF8C0F78
	s_barrier                                                  // 0000000037E0: BF8A0000
	ds_read_b128 v[108:111], v6                                // 0000000037E4: D9FE0000 6C000006
	ds_read_b128 v[112:115], v6 offset:64                      // 0000000037EC: D9FE0040 70000006
	ds_read_b128 v[116:119], v6 offset:512                     // 0000000037F4: D9FE0200 74000006
	ds_read_b128 v[120:123], v6 offset:576                     // 0000000037FC: D9FE0240 78000006
	s_cmp_lt_i32 s7, 2                                         // 000000003804: BF048207
	s_cbranch_scc0 label_0980                                  // 000000003808: BF8406FD

000000000000380c <label_0283>:
	s_waitcnt vmcnt(6) lgkmcnt(0)                              // 00000000380C: BF8C0076
	s_barrier                                                  // 000000003810: BF8A0000
	v_mfma_scale_f32_16x16x128_f8f6f4 v[44:47], a[0:3], v[108:111], v[44:47], v21, v19 op_sel_hi:[0,0,0] cbsz:4 blgp:4// 000000003814: D3AC6000 00022715 D3AD0C2C 8CB2D900
	v_mfma_scale_f32_16x16x128_f8f6f4 v[60:63], a[0:3], v[116:119], v[60:63], v21, v19 op_sel_hi:[0,0,0] cbsz:4 blgp:4// 000000003824: D3AC7000 00022715 D3AD0C3C 8CF2E900
	buffer_load_dwordx4 a[32:35], v36, s[92:95], 0 offen       // 000000003834: E05C1000 80972024
	buffer_load_dwordx4 v35, s[20:23], 0 offen lds             // 00000000383C: E05D1000 80050023
	s_add_u32 m0, 0, s50                                       // 000000003844: 807C3280
	v_mfma_scale_f32_16x16x128_f8f6f4 v[48:51], a[4:7], v[108:111], v[48:51], v21, v19 op_sel_hi:[0,0,0] cbsz:4 blgp:4// 000000003848: D3AC6800 00022715 D3AD0C30 8CC2D904
	v_mfma_scale_f32_16x16x128_f8f6f4 v[64:67], a[4:7], v[116:119], v[64:67], v21, v19 op_sel_hi:[0,0,0] cbsz:4 blgp:4// 000000003858: D3AC7800 00022715 D3AD0C40 8D02E904
	buffer_load_dwordx4 a[36:39], v37, s[92:95], 0 offen       // 000000003868: E05C1000 80972425
	buffer_load_dword v20, v12, s[28:31], 0 offen              // 000000003870: E0501000 8007140C
	buffer_load_dword v25, v17, s[32:35], 0 offen              // 000000003878: E0501000 80081911
	buffer_load_dword v26, v18, s[32:35], 0 offen              // 000000003880: E0501000 80081A12
	s_waitcnt vmcnt(10)                                        // 000000003888: BF8C0F7A
	v_mfma_scale_f32_16x16x128_f8f6f4 v[52:55], a[8:11], v[108:111], v[52:55], v22, v19 op_sel_hi:[0,0,0] cbsz:4 blgp:4// 00000000388C: D3AC6000 00022716 D3AD0C34 8CD2D908
	v_mfma_scale_f32_16x16x128_f8f6f4 v[68:71], a[8:11], v[116:119], v[68:71], v22, v19 op_sel_hi:[0,0,0] cbsz:4 blgp:4// 00000000389C: D3AC7000 00022716 D3AD0C44 8D12E908
	buffer_load_dwordx4 a[40:43], v38, s[92:95], 0 offen       // 0000000038AC: E05C1000 80972826
	v_mfma_scale_f32_16x16x128_f8f6f4 v[56:59], a[12:15], v[108:111], v[56:59], v22, v19 op_sel_hi:[0,0,0] cbsz:4 blgp:4// 0000000038B4: D3AC6800 00022716 D3AD0C38 8CE2D90C
	v_mfma_scale_f32_16x16x128_f8f6f4 v[72:75], a[12:15], v[116:119], v[72:75], v22, v19 op_sel_hi:[0,0,0] cbsz:4 blgp:4// 0000000038C4: D3AC7800 00022716 D3AD0C48 8D22E90C
	buffer_load_dwordx4 a[44:47], v39, s[92:95], 0 offen       // 0000000038D4: E05C1000 80972C27
	s_nop 0                                                    // 0000000038DC: BF800000
	s_waitcnt vmcnt(10)                                        // 0000000038E0: BF8C0F7A
	v_mfma_scale_f32_16x16x128_f8f6f4 v[44:47], a[16:19], v[112:115], v[44:47], v21, v19 op_sel_hi:[0,0,0] cbsz:4 blgp:4// 0000000038E4: D3AC6000 18022715 D3AD0C2C 8CB2E110
	v_mfma_scale_f32_16x16x128_f8f6f4 v[60:63], a[16:19], v[120:123], v[60:63], v21, v19 op_sel_hi:[0,0,0] cbsz:4 blgp:4// 0000000038F4: D3AC7000 18022715 D3AD0C3C 8CF2F110
	buffer_load_dwordx4 a[48:51], v36, s[92:95], 0 offen offset:1024// 000000003904: E05C1400 80973024
	v_mfma_scale_f32_16x16x128_f8f6f4 v[48:51], a[20:23], v[112:115], v[48:51], v21, v19 op_sel_hi:[0,0,0] cbsz:4 blgp:4// 00000000390C: D3AC6800 18022715 D3AD0C30 8CC2E114
	v_mfma_scale_f32_16x16x128_f8f6f4 v[64:67], a[20:23], v[120:123], v[64:67], v21, v19 op_sel_hi:[0,0,0] cbsz:4 blgp:4// 00000000391C: D3AC7800 18022715 D3AD0C40 8D02F114
	buffer_load_dwordx4 a[52:55], v37, s[92:95], 0 offen offset:1024// 00000000392C: E05C1400 80973425
	s_waitcnt vmcnt(10)                                        // 000000003934: BF8C0F7A
	v_mfma_scale_f32_16x16x128_f8f6f4 v[52:55], a[24:27], v[112:115], v[52:55], v22, v19 op_sel_hi:[0,0,0] cbsz:4 blgp:4// 000000003938: D3AC6000 18022716 D3AD0C34 8CD2E118
	v_mfma_scale_f32_16x16x128_f8f6f4 v[68:71], a[24:27], v[120:123], v[68:71], v22, v19 op_sel_hi:[0,0,0] cbsz:4 blgp:4// 000000003948: D3AC7000 18022716 D3AD0C44 8D12F118
	buffer_load_dwordx4 a[56:59], v38, s[92:95], 0 offen offset:1024// 000000003958: E05C1400 80973826
	v_mfma_scale_f32_16x16x128_f8f6f4 v[56:59], a[28:31], v[112:115], v[56:59], v22, v19 op_sel_hi:[0,0,0] cbsz:4 blgp:4// 000000003960: D3AC6800 18022716 D3AD0C38 8CE2E11C
	v_mfma_scale_f32_16x16x128_f8f6f4 v[72:75], a[28:31], v[120:123], v[72:75], v22, v19 op_sel_hi:[0,0,0] cbsz:4 blgp:4// 000000003970: D3AC7800 18022716 D3AD0C48 8D22F11C
	buffer_load_dwordx4 a[60:63], v39, s[92:95], 0 offen offset:1024// 000000003980: E05C1400 80973C27
	s_add_u32 s60, 0x100, s80                                  // 000000003988: 803C50FF 00000100
	s_cmp_lt_u32 s60, s81                                      // 000000003990: BF0A513C
	s_cselect_b32 s4, s4, 0                                    // 000000003994: 85048004
	s_add_u32 s32, s4, s32                                     // 000000003998: 80202004
	s_addc_u32 s33, 0, s33                                     // 00000000399C: 82212180
	s_waitcnt vmcnt(6)                                         // 0000000039A0: BF8C0F76
	s_barrier                                                  // 0000000039A4: BF8A0000
	v_mfma_scale_f32_16x16x128_f8f6f4 v[76:79], a[32:35], v[108:111], v[76:79], v25, v19 op_sel_hi:[0,0,0] cbsz:4 blgp:4// 0000000039A8: D3AC6000 00022719 D3AD0C4C 8D32D920
	v_mfma_scale_f32_16x16x128_f8f6f4 v[92:95], a[32:35], v[116:119], v[92:95], v25, v19 op_sel_hi:[0,0,0] cbsz:4 blgp:4// 0000000039B8: D3AC7000 00022719 D3AD0C5C 8D72E920
	buffer_load_dwordx4 a[0:3], v36, s[24:27], 0 offen         // 0000000039C8: E05C1000 80860024
	buffer_load_dword v23, v15, s[32:35], 0 offen              // 0000000039D0: E0501000 8008170F
	buffer_load_dword v24, v16, s[32:35], 0 offen              // 0000000039D8: E0501000 80081810
	v_mfma_scale_f32_16x16x128_f8f6f4 v[80:83], a[36:39], v[108:111], v[80:83], v25, v19 op_sel_hi:[0,0,0] cbsz:4 blgp:4// 0000000039E0: D3AC6800 00022719 D3AD0C50 8D42D924
	v_mfma_scale_f32_16x16x128_f8f6f4 v[96:99], a[36:39], v[116:119], v[96:99], v25, v19 op_sel_hi:[0,0,0] cbsz:4 blgp:4// 0000000039F0: D3AC7800 00022719 D3AD0C60 8D82E924
	buffer_load_dwordx4 a[4:7], v37, s[24:27], 0 offen         // 000000003A00: E05C1000 80860425
	s_waitcnt vmcnt(8)                                         // 000000003A08: BF8C0F78
	v_mfma_scale_f32_16x16x128_f8f6f4 v[84:87], a[40:43], v[108:111], v[84:87], v26, v19 op_sel_hi:[0,0,0] cbsz:4 blgp:4// 000000003A0C: D3AC6000 0002271A D3AD0C54 8D52D928
	v_mfma_scale_f32_16x16x128_f8f6f4 v[100:103], a[40:43], v[116:119], v[100:103], v26, v19 op_sel_hi:[0,0,0] cbsz:4 blgp:4// 000000003A1C: D3AC7000 0002271A D3AD0C64 8D92E928
	buffer_load_dwordx4 a[8:11], v38, s[24:27], 0 offen        // 000000003A2C: E05C1000 80860826
	v_mfma_scale_f32_16x16x128_f8f6f4 v[88:91], a[44:47], v[108:111], v[88:91], v26, v19 op_sel_hi:[0,0,0] cbsz:4 blgp:4// 000000003A34: D3AC6800 0002271A D3AD0C58 8D62D92C
	v_mfma_scale_f32_16x16x128_f8f6f4 v[104:107], a[44:47], v[116:119], v[104:107], v26, v19 op_sel_hi:[0,0,0] cbsz:4 blgp:4// 000000003A44: D3AC7800 0002271A D3AD0C68 8DA2E92C
	buffer_load_dwordx4 a[12:15], v39, s[24:27], 0 offen       // 000000003A54: E05C1000 80860C27
	s_waitcnt vmcnt(8)                                         // 000000003A5C: BF8C0F78
	v_mfma_scale_f32_16x16x128_f8f6f4 v[76:79], a[48:51], v[112:115], v[76:79], v25, v19 op_sel_hi:[0,0,0] cbsz:4 blgp:4// 000000003A60: D3AC6000 18022719 D3AD0C4C 8D32E130
	ds_read_b128 v[124:127], v6 offset:4224                    // 000000003A70: D9FE1080 7C000006
	ds_read_b128 v[128:131], v6 offset:4288                    // 000000003A78: D9FE10C0 80000006
	v_mfma_scale_f32_16x16x128_f8f6f4 v[92:95], a[48:51], v[120:123], v[92:95], v25, v19 op_sel_hi:[0,0,0] cbsz:4 blgp:4// 000000003A80: D3AC7000 18022719 D3AD0C5C 8D72F130
	buffer_load_dwordx4 a[16:19], v36, s[24:27], 0 offen offset:1024// 000000003A90: E05C1400 80861024
	v_mfma_scale_f32_16x16x128_f8f6f4 v[80:83], a[52:55], v[112:115], v[80:83], v25, v19 op_sel_hi:[0,0,0] cbsz:4 blgp:4// 000000003A98: D3AC6800 18022719 D3AD0C50 8D42E134
	ds_read_b128 v[132:135], v6 offset:4736                    // 000000003AA8: D9FE1280 84000006
	ds_read_b128 v[136:139], v6 offset:4800                    // 000000003AB0: D9FE12C0 88000006
	v_mfma_scale_f32_16x16x128_f8f6f4 v[96:99], a[52:55], v[120:123], v[96:99], v25, v19 op_sel_hi:[0,0,0] cbsz:4 blgp:4// 000000003AB8: D3AC7800 18022719 D3AD0C60 8D82F134
	buffer_load_dwordx4 a[20:23], v37, s[24:27], 0 offen offset:1024// 000000003AC8: E05C1400 80861425
	s_waitcnt vmcnt(8)                                         // 000000003AD0: BF8C0F78
	v_mfma_scale_f32_16x16x128_f8f6f4 v[84:87], a[56:59], v[112:115], v[84:87], v26, v19 op_sel_hi:[0,0,0] cbsz:4 blgp:4// 000000003AD4: D3AC6000 1802271A D3AD0C54 8D52E138
	v_mfma_scale_f32_16x16x128_f8f6f4 v[100:103], a[56:59], v[120:123], v[100:103], v26, v19 op_sel_hi:[0,0,0] cbsz:4 blgp:4// 000000003AE4: D3AC7000 1802271A D3AD0C64 8D92F138
	buffer_load_dwordx4 a[24:27], v38, s[24:27], 0 offen offset:1024// 000000003AF4: E05C1400 80861826
	v_mfma_scale_f32_16x16x128_f8f6f4 v[88:91], a[60:63], v[112:115], v[88:91], v26, v19 op_sel_hi:[0,0,0] cbsz:4 blgp:4// 000000003AFC: D3AC6800 1802271A D3AD0C58 8D62E13C
	v_mfma_scale_f32_16x16x128_f8f6f4 v[104:107], a[60:63], v[120:123], v[104:107], v26, v19 op_sel_hi:[0,0,0] cbsz:4 blgp:4// 000000003B0C: D3AC7800 1802271A D3AD0C68 8DA2F13C
	buffer_load_dwordx4 a[28:31], v39, s[24:27], 0 offen offset:1024// 000000003B1C: E05C1400 80861C27
	s_add_u32 s60, 0x200, s80                                  // 000000003B24: 803C50FF 00000200
	s_cmp_lt_u32 s60, s81                                      // 000000003B2C: BF0A513C
	s_cselect_b32 s57, s57, 0                                  // 000000003B30: 85398039
	s_cselect_b32 s3, s3, 0                                    // 000000003B34: 85038003
	s_add_u32 s60, 0x200, s80                                  // 000000003B38: 803C50FF 00000200
	s_cmp_lt_u32 s60, s81                                      // 000000003B40: BF0A513C
	s_cselect_b32 s58, s58, 0                                  // 000000003B44: 853A803A
	s_add_u32 s20, s57, s20                                    // 000000003B48: 80141439
	s_addc_u32 s21, 0, s21                                     // 000000003B4C: 82151580
	s_add_u32 s28, s3, s28                                     // 000000003B50: 801C1C03
	s_addc_u32 s29, 0, s29                                     // 000000003B54: 821D1D80
	s_add_u32 s24, s58, s24                                    // 000000003B58: 8018183A
	s_addc_u32 s25, 0, s25                                     // 000000003B5C: 82191980
	s_add_u32 s92, s90, s92                                    // 000000003B60: 805C5C5A
	s_addc_u32 s93, 0, s93                                     // 000000003B64: 825D5D80
	s_addk_i32 s80, 0x100                                      // 000000003B68: B7500100
	s_cmp_lt_i32 s80, s81                                      // 000000003B6C: BF045150
	s_cbranch_scc0 label_0438                                  // 000000003B70: BF8400DB
	s_waitcnt vmcnt(6) lgkmcnt(0)                              // 000000003B74: BF8C0076
	s_barrier                                                  // 000000003B78: BF8A0000
	v_mfma_scale_f32_16x16x128_f8f6f4 v[44:47], a[0:3], v[124:127], v[44:47], v23, v20 op_sel_hi:[0,0,0] cbsz:4 blgp:4// 000000003B7C: D3AC6000 00022917 D3AD0C2C 8CB2F900
	v_mfma_scale_f32_16x16x128_f8f6f4 v[60:63], a[0:3], v[132:135], v[60:63], v23, v20 op_sel_hi:[0,0,0] cbsz:4 blgp:4// 000000003B8C: D3AC7000 00022917 D3AD0C3C 8CF30900
	buffer_load_dwordx4 a[32:35], v36, s[92:95], 0 offen       // 000000003B9C: E05C1000 80972024
	buffer_load_dwordx4 v35, s[20:23], 0 offen lds             // 000000003BA4: E05D1000 80050023
	s_add_u32 m0, 0, s51                                       // 000000003BAC: 807C3380
	v_mfma_scale_f32_16x16x128_f8f6f4 v[48:51], a[4:7], v[124:127], v[48:51], v23, v20 op_sel_hi:[0,0,0] cbsz:4 blgp:4// 000000003BB0: D3AC6800 00022917 D3AD0C30 8CC2F904
	v_mfma_scale_f32_16x16x128_f8f6f4 v[64:67], a[4:7], v[132:135], v[64:67], v23, v20 op_sel_hi:[0,0,0] cbsz:4 blgp:4// 000000003BC0: D3AC7800 00022917 D3AD0C40 8D030904
	buffer_load_dwordx4 a[36:39], v37, s[92:95], 0 offen       // 000000003BD0: E05C1000 80972425
	buffer_load_dword v19, v12, s[28:31], 0 offen              // 000000003BD8: E0501000 8007130C
	buffer_load_dword v27, v17, s[32:35], 0 offen              // 000000003BE0: E0501000 80081B11
	buffer_load_dword v28, v18, s[32:35], 0 offen              // 000000003BE8: E0501000 80081C12
	s_waitcnt vmcnt(10)                                        // 000000003BF0: BF8C0F7A
	v_mfma_scale_f32_16x16x128_f8f6f4 v[52:55], a[8:11], v[124:127], v[52:55], v24, v20 op_sel_hi:[0,0,0] cbsz:4 blgp:4// 000000003BF4: D3AC6000 00022918 D3AD0C34 8CD2F908
	v_mfma_scale_f32_16x16x128_f8f6f4 v[68:71], a[8:11], v[132:135], v[68:71], v24, v20 op_sel_hi:[0,0,0] cbsz:4 blgp:4// 000000003C04: D3AC7000 00022918 D3AD0C44 8D130908
	buffer_load_dwordx4 a[40:43], v38, s[92:95], 0 offen       // 000000003C14: E05C1000 80972826
	v_mfma_scale_f32_16x16x128_f8f6f4 v[56:59], a[12:15], v[124:127], v[56:59], v24, v20 op_sel_hi:[0,0,0] cbsz:4 blgp:4// 000000003C1C: D3AC6800 00022918 D3AD0C38 8CE2F90C
	v_mfma_scale_f32_16x16x128_f8f6f4 v[72:75], a[12:15], v[132:135], v[72:75], v24, v20 op_sel_hi:[0,0,0] cbsz:4 blgp:4// 000000003C2C: D3AC7800 00022918 D3AD0C48 8D23090C
	buffer_load_dwordx4 a[44:47], v39, s[92:95], 0 offen       // 000000003C3C: E05C1000 80972C27
	s_nop 0                                                    // 000000003C44: BF800000
	s_waitcnt vmcnt(10)                                        // 000000003C48: BF8C0F7A
	v_mfma_scale_f32_16x16x128_f8f6f4 v[44:47], a[16:19], v[128:131], v[44:47], v23, v20 op_sel_hi:[0,0,0] cbsz:4 blgp:4// 000000003C4C: D3AC6000 18022917 D3AD0C2C 8CB30110
	v_mfma_scale_f32_16x16x128_f8f6f4 v[60:63], a[16:19], v[136:139], v[60:63], v23, v20 op_sel_hi:[0,0,0] cbsz:4 blgp:4// 000000003C5C: D3AC7000 18022917 D3AD0C3C 8CF31110
	buffer_load_dwordx4 a[48:51], v36, s[92:95], 0 offen offset:1024// 000000003C6C: E05C1400 80973024
	v_mfma_scale_f32_16x16x128_f8f6f4 v[48:51], a[20:23], v[128:131], v[48:51], v23, v20 op_sel_hi:[0,0,0] cbsz:4 blgp:4// 000000003C74: D3AC6800 18022917 D3AD0C30 8CC30114
	v_mfma_scale_f32_16x16x128_f8f6f4 v[64:67], a[20:23], v[136:139], v[64:67], v23, v20 op_sel_hi:[0,0,0] cbsz:4 blgp:4// 000000003C84: D3AC7800 18022917 D3AD0C40 8D031114
	buffer_load_dwordx4 a[52:55], v37, s[92:95], 0 offen offset:1024// 000000003C94: E05C1400 80973425
	s_waitcnt vmcnt(10)                                        // 000000003C9C: BF8C0F7A
	v_mfma_scale_f32_16x16x128_f8f6f4 v[52:55], a[24:27], v[128:131], v[52:55], v24, v20 op_sel_hi:[0,0,0] cbsz:4 blgp:4// 000000003CA0: D3AC6000 18022918 D3AD0C34 8CD30118
	v_mfma_scale_f32_16x16x128_f8f6f4 v[68:71], a[24:27], v[136:139], v[68:71], v24, v20 op_sel_hi:[0,0,0] cbsz:4 blgp:4// 000000003CB0: D3AC7000 18022918 D3AD0C44 8D131118
	buffer_load_dwordx4 a[56:59], v38, s[92:95], 0 offen offset:1024// 000000003CC0: E05C1400 80973826
	v_mfma_scale_f32_16x16x128_f8f6f4 v[56:59], a[28:31], v[128:131], v[56:59], v24, v20 op_sel_hi:[0,0,0] cbsz:4 blgp:4// 000000003CC8: D3AC6800 18022918 D3AD0C38 8CE3011C
	v_mfma_scale_f32_16x16x128_f8f6f4 v[72:75], a[28:31], v[136:139], v[72:75], v24, v20 op_sel_hi:[0,0,0] cbsz:4 blgp:4// 000000003CD8: D3AC7800 18022918 D3AD0C48 8D23111C
	buffer_load_dwordx4 a[60:63], v39, s[92:95], 0 offen offset:1024// 000000003CE8: E05C1400 80973C27
	s_add_u32 s60, 0x100, s80                                  // 000000003CF0: 803C50FF 00000100
	s_cmp_lt_u32 s60, s81                                      // 000000003CF8: BF0A513C
	s_cselect_b32 s4, s4, 0                                    // 000000003CFC: 85048004
	s_add_u32 s32, s4, s32                                     // 000000003D00: 80202004
	s_addc_u32 s33, 0, s33                                     // 000000003D04: 82212180
	s_waitcnt vmcnt(6)                                         // 000000003D08: BF8C0F76
	s_barrier                                                  // 000000003D0C: BF8A0000
	v_mfma_scale_f32_16x16x128_f8f6f4 v[76:79], a[32:35], v[124:127], v[76:79], v27, v20 op_sel_hi:[0,0,0] cbsz:4 blgp:4// 000000003D10: D3AC6000 0002291B D3AD0C4C 8D32F920
	v_mfma_scale_f32_16x16x128_f8f6f4 v[92:95], a[32:35], v[132:135], v[92:95], v27, v20 op_sel_hi:[0,0,0] cbsz:4 blgp:4// 000000003D20: D3AC7000 0002291B D3AD0C5C 8D730920
	buffer_load_dwordx4 a[0:3], v36, s[24:27], 0 offen         // 000000003D30: E05C1000 80860024
	buffer_load_dword v21, v15, s[32:35], 0 offen              // 000000003D38: E0501000 8008150F
	buffer_load_dword v22, v16, s[32:35], 0 offen              // 000000003D40: E0501000 80081610
	v_mfma_scale_f32_16x16x128_f8f6f4 v[80:83], a[36:39], v[124:127], v[80:83], v27, v20 op_sel_hi:[0,0,0] cbsz:4 blgp:4// 000000003D48: D3AC6800 0002291B D3AD0C50 8D42F924
	v_mfma_scale_f32_16x16x128_f8f6f4 v[96:99], a[36:39], v[132:135], v[96:99], v27, v20 op_sel_hi:[0,0,0] cbsz:4 blgp:4// 000000003D58: D3AC7800 0002291B D3AD0C60 8D830924
	buffer_load_dwordx4 a[4:7], v37, s[24:27], 0 offen         // 000000003D68: E05C1000 80860425
	s_waitcnt vmcnt(8)                                         // 000000003D70: BF8C0F78
	v_mfma_scale_f32_16x16x128_f8f6f4 v[84:87], a[40:43], v[124:127], v[84:87], v28, v20 op_sel_hi:[0,0,0] cbsz:4 blgp:4// 000000003D74: D3AC6000 0002291C D3AD0C54 8D52F928
	v_mfma_scale_f32_16x16x128_f8f6f4 v[100:103], a[40:43], v[132:135], v[100:103], v28, v20 op_sel_hi:[0,0,0] cbsz:4 blgp:4// 000000003D84: D3AC7000 0002291C D3AD0C64 8D930928
	buffer_load_dwordx4 a[8:11], v38, s[24:27], 0 offen        // 000000003D94: E05C1000 80860826
	v_mfma_scale_f32_16x16x128_f8f6f4 v[88:91], a[44:47], v[124:127], v[88:91], v28, v20 op_sel_hi:[0,0,0] cbsz:4 blgp:4// 000000003D9C: D3AC6800 0002291C D3AD0C58 8D62F92C
	v_mfma_scale_f32_16x16x128_f8f6f4 v[104:107], a[44:47], v[132:135], v[104:107], v28, v20 op_sel_hi:[0,0,0] cbsz:4 blgp:4// 000000003DAC: D3AC7800 0002291C D3AD0C68 8DA3092C
	buffer_load_dwordx4 a[12:15], v39, s[24:27], 0 offen       // 000000003DBC: E05C1000 80860C27
	s_waitcnt vmcnt(8)                                         // 000000003DC4: BF8C0F78
	v_mfma_scale_f32_16x16x128_f8f6f4 v[76:79], a[48:51], v[128:131], v[76:79], v27, v20 op_sel_hi:[0,0,0] cbsz:4 blgp:4// 000000003DC8: D3AC6000 1802291B D3AD0C4C 8D330130
	ds_read_b128 v[108:111], v6                                // 000000003DD8: D9FE0000 6C000006
	ds_read_b128 v[112:115], v6 offset:64                      // 000000003DE0: D9FE0040 70000006
	v_mfma_scale_f32_16x16x128_f8f6f4 v[92:95], a[48:51], v[136:139], v[92:95], v27, v20 op_sel_hi:[0,0,0] cbsz:4 blgp:4// 000000003DE8: D3AC7000 1802291B D3AD0C5C 8D731130
	buffer_load_dwordx4 a[16:19], v36, s[24:27], 0 offen offset:1024// 000000003DF8: E05C1400 80861024
	v_mfma_scale_f32_16x16x128_f8f6f4 v[80:83], a[52:55], v[128:131], v[80:83], v27, v20 op_sel_hi:[0,0,0] cbsz:4 blgp:4// 000000003E00: D3AC6800 1802291B D3AD0C50 8D430134
	ds_read_b128 v[116:119], v6 offset:512                     // 000000003E10: D9FE0200 74000006
	ds_read_b128 v[120:123], v6 offset:576                     // 000000003E18: D9FE0240 78000006
	v_mfma_scale_f32_16x16x128_f8f6f4 v[96:99], a[52:55], v[136:139], v[96:99], v27, v20 op_sel_hi:[0,0,0] cbsz:4 blgp:4// 000000003E20: D3AC1800 1802291B D3AD0C60 8D831134
	buffer_load_dwordx4 a[20:23], v37, s[24:27], 0 offen offset:1024// 000000003E30: E05C1400 80861425
	s_waitcnt vmcnt(8)                                         // 000000003E38: BF8C0F78
	v_mfma_scale_f32_16x16x128_f8f6f4 v[84:87], a[56:59], v[128:131], v[84:87], v28, v20 op_sel_hi:[0,0,0] cbsz:4 blgp:4// 000000003E3C: D3AC0000 1802291C D3AD0C54 8D530138
	v_mfma_scale_f32_16x16x128_f8f6f4 v[100:103], a[56:59], v[136:139], v[100:103], v28, v20 op_sel_hi:[0,0,0] cbsz:4 blgp:4// 000000003E4C: D3AC1000 1802291C D3AD0C64 8D931138
	buffer_load_dwordx4 a[24:27], v38, s[24:27], 0 offen offset:1024// 000000003E5C: E05C1400 80861826
	v_mfma_scale_f32_16x16x128_f8f6f4 v[88:91], a[60:63], v[128:131], v[88:91], v28, v20 op_sel_hi:[0,0,0] cbsz:4 blgp:4// 000000003E64: D3AC6800 1802291C D3AD0C58 8D63013C
	v_mfma_scale_f32_16x16x128_f8f6f4 v[104:107], a[60:63], v[136:139], v[104:107], v28, v20 op_sel_hi:[0,0,0] cbsz:4 blgp:4// 000000003E74: D3AC7800 1802291C D3AD0C68 8DA3113C
	buffer_load_dwordx4 a[28:31], v39, s[24:27], 0 offen offset:1024// 000000003E84: E05C1400 80861C27
	s_add_u32 s60, 0x200, s80                                  // 000000003E8C: 803C50FF 00000200
	s_cmp_lt_u32 s60, s81                                      // 000000003E94: BF0A513C
	s_cselect_b32 s57, s57, 0                                  // 000000003E98: 85398039
	s_cselect_b32 s3, s3, 0                                    // 000000003E9C: 85038003
	s_add_u32 s60, 0x200, s80                                  // 000000003EA0: 803C50FF 00000200
	s_cmp_lt_u32 s60, s81                                      // 000000003EA8: BF0A513C
	s_cselect_b32 s58, s58, 0                                  // 000000003EAC: 853A803A
	s_add_u32 s20, s57, s20                                    // 000000003EB0: 80141439
	s_addc_u32 s21, 0, s21                                     // 000000003EB4: 82151580
	s_add_u32 s28, s3, s28                                     // 000000003EB8: 801C1C03
	s_addc_u32 s29, 0, s29                                     // 000000003EBC: 821D1D80
	s_add_u32 s24, s58, s24                                    // 000000003EC0: 8018183A
	s_addc_u32 s25, 0, s25                                     // 000000003EC4: 82191980
	s_add_u32 s92, s90, s92                                    // 000000003EC8: 805C5C5A
	s_addc_u32 s93, 0, s93                                     // 000000003ECC: 825D5D80
	s_addk_i32 s80, 0x100                                      // 000000003ED0: B7500100
	s_cmp_lt_i32 s80, s81                                      // 000000003ED4: BF045150
	s_cbranch_scc0 label_0438                                  // 000000003ED8: BF840001
	s_branch label_0283                                        // 000000003EDC: BF82FE4B

0000000000003ee0 <label_0438>:
	s_mov_b32 s36, -1                                          // 000000003EE0: BEA400C1
	s_mov_b32 s37, -1                                          // 000000003EE4: BEA500C1
	s_mov_b64 s[60:61], 0                                      // 000000003EE8: BEBC0180
	s_cmp_lt_u32 s82, s66                                      // 000000003EEC: BF0A4252
	s_cselect_b64 s[20:21], s[36:37], s[60:61]                 // 000000003EF0: 85943C24
	s_cmp_lt_u32 s83, s66                                      // 000000003EF4: BF0A4253
	s_cselect_b64 s[22:23], s[36:37], s[60:61]                 // 000000003EF8: 85963C24
	s_cmp_lt_u32 s84, s66                                      // 000000003EFC: BF0A4254
	s_cselect_b64 s[24:25], s[36:37], s[60:61]                 // 000000003F00: 85983C24
	s_cmp_lt_u32 s85, s66                                      // 000000003F04: BF0A4255
	s_cselect_b64 s[26:27], s[36:37], s[60:61]                 // 000000003F08: 859A3C24
	s_cmp_lt_u32 s86, s66                                      // 000000003F0C: BF0A4256
	s_cselect_b64 s[28:29], s[36:37], s[60:61]                 // 000000003F10: 859C3C24
	s_cmp_lt_u32 s87, s66                                      // 000000003F14: BF0A4257
	s_cselect_b64 s[30:31], s[36:37], s[60:61]                 // 000000003F18: 859E3C24
	s_cmp_lt_u32 s88, s66                                      // 000000003F1C: BF0A4258
	s_cselect_b64 s[32:33], s[36:37], s[60:61]                 // 000000003F20: 85A03C24
	s_cmp_lt_u32 s89, s66                                      // 000000003F24: BF0A4259
	s_cselect_b64 s[34:35], s[36:37], s[60:61]                 // 000000003F28: 85A23C24
	v_mov_b32_e32 v1, 0xbfcc4231                               // 000000003F2C: 7E0202FF BFCC4231
	s_waitcnt vmcnt(6)                                         // 000000003F34: BF8C0F76
	buffer_load_dwordx4 a[0:3], v40, s[12:15], 0 offen         // 000000003F38: E05C1000 80830028
	v_mul_f32_e64 v2, -v44, s6                                 // 000000003F40: D1050002 20000D2C
	v_mul_f32_e64 v3, -v45, s6                                 // 000000003F48: D1050003 20000D2D
	v_mul_f32_e64 v4, -v46, s6                                 // 000000003F50: D1050004 20000D2E
	v_mul_f32_e64 v5, -v47, s6                                 // 000000003F58: D1050005 20000D2F
	v_exp_f32_e32 v2, v2                                       // 000000003F60: 7E044102
	v_exp_f32_e32 v3, v3                                       // 000000003F64: 7E064103
	v_exp_f32_e32 v4, v4                                       // 000000003F68: 7E084104
	v_exp_f32_e32 v5, v5                                       // 000000003F6C: 7E0A4105
	buffer_load_dwordx4 a[4:7], v41, s[12:15], 0 offen         // 000000003F70: E05C1000 80830429
	v_add_f32_e64 v2, v2, 1.0                                  // 000000003F78: D1010002 0001E502
	v_add_f32_e64 v3, v3, 1.0                                  // 000000003F80: D1010003 0001E503
	v_add_f32_e64 v4, v4, 1.0                                  // 000000003F88: D1010004 0001E504
	v_add_f32_e64 v5, v5, 1.0                                  // 000000003F90: D1010005 0001E505
	v_rcp_f32_e32 v2, v2                                       // 000000003F98: 7E044502
	v_rcp_f32_e32 v3, v3                                       // 000000003F9C: 7E064503
	v_rcp_f32_e32 v4, v4                                       // 000000003FA0: 7E084504
	v_rcp_f32_e32 v5, v5                                       // 000000003FA4: 7E0A4505
	v_mul_f32_e32 v44, v44, v2                                 // 000000003FA8: 0A58052C
	v_mul_f32_e32 v45, v45, v3                                 // 000000003FAC: 0A5A072D
	v_mul_f32_e32 v46, v46, v4                                 // 000000003FB0: 0A5C092E
	v_mul_f32_e32 v47, v47, v5                                 // 000000003FB4: 0A5E0B2F
	v_mul_f32_e32 v44, v44, v76                                // 000000003FB8: 0A58992C
	v_mul_f32_e32 v45, v45, v77                                // 000000003FBC: 0A5A9B2D
	v_mul_f32_e32 v46, v46, v78                                // 000000003FC0: 0A5C9D2E
	v_mul_f32_e32 v47, v47, v79                                // 000000003FC4: 0A5E9F2F
	s_waitcnt vmcnt(6)                                         // 000000003FC8: BF8C0F76
	buffer_load_dwordx4 a[8:11], v42, s[12:15], 0 offen        // 000000003FCC: E05C1000 8083082A
	v_mul_f32_e64 v2, -v48, s6                                 // 000000003FD4: D1050002 20000D30
	v_mul_f32_e64 v3, -v49, s6                                 // 000000003FDC: D1050003 20000D31
	v_mul_f32_e64 v4, -v50, s6                                 // 000000003FE4: D1050004 20000D32
	v_mul_f32_e64 v5, -v51, s6                                 // 000000003FEC: D1050005 20000D33
	v_exp_f32_e32 v2, v2                                       // 000000003FF4: 7E044102
	v_exp_f32_e32 v3, v3                                       // 000000003FF8: 7E064103
	v_exp_f32_e32 v4, v4                                       // 000000003FFC: 7E084104
	v_exp_f32_e32 v5, v5                                       // 000000004000: 7E0A4105
	buffer_load_dwordx4 a[12:15], v43, s[12:15], 0 offen       // 000000004004: E05C1000 80830C2B
	v_add_f32_e64 v2, v2, 1.0                                  // 00000000400C: D1010002 0001E502
	v_add_f32_e64 v3, v3, 1.0                                  // 000000004014: D1010003 0001E503
	v_add_f32_e64 v4, v4, 1.0                                  // 00000000401C: D1010004 0001E504
	v_add_f32_e64 v5, v5, 1.0                                  // 000000004024: D1010005 0001E505
	v_rcp_f32_e32 v2, v2                                       // 00000000402C: 7E044502
	v_rcp_f32_e32 v3, v3                                       // 000000004030: 7E064503
	v_rcp_f32_e32 v4, v4                                       // 000000004034: 7E084504
	v_rcp_f32_e32 v5, v5                                       // 000000004038: 7E0A4505
	v_mul_f32_e32 v48, v48, v2                                 // 00000000403C: 0A600530
	v_mul_f32_e32 v49, v49, v3                                 // 000000004040: 0A620731
	v_mul_f32_e32 v50, v50, v4                                 // 000000004044: 0A640932
	v_mul_f32_e32 v51, v51, v5                                 // 000000004048: 0A660B33
	v_mul_f32_e32 v48, v48, v80                                // 00000000404C: 0A60A130
	v_mul_f32_e32 v49, v49, v81                                // 000000004050: 0A62A331
	v_mul_f32_e32 v50, v50, v82                                // 000000004054: 0A64A532
	v_mul_f32_e32 v51, v51, v83                                // 000000004058: 0A66A733
	s_waitcnt vmcnt(6)                                         // 00000000405C: BF8C0F76
	buffer_load_dwordx4 a[16:19], v40, s[12:15], 0 offen offset:1024// 000000004060: E05C1400 80831028
	v_mul_f32_e64 v2, -v52, s6                                 // 000000004068: D1050002 20000D34
	v_mul_f32_e64 v3, -v53, s6                                 // 000000004070: D1050003 20000D35
	v_mul_f32_e64 v4, -v54, s6                                 // 000000004078: D1050004 20000D36
	v_mul_f32_e64 v5, -v55, s6                                 // 000000004080: D1050005 20000D37
	v_exp_f32_e32 v2, v2                                       // 000000004088: 7E044102
	v_exp_f32_e32 v3, v3                                       // 00000000408C: 7E064103
	v_exp_f32_e32 v4, v4                                       // 000000004090: 7E084104
	v_exp_f32_e32 v5, v5                                       // 000000004094: 7E0A4105
	buffer_load_dwordx4 a[20:23], v41, s[12:15], 0 offen offset:1024// 000000004098: E05C1400 80831429
	v_add_f32_e64 v2, v2, 1.0                                  // 0000000040A0: D1010002 0001E502
	v_add_f32_e64 v3, v3, 1.0                                  // 0000000040A8: D1010003 0001E503
	v_add_f32_e64 v4, v4, 1.0                                  // 0000000040B0: D1010004 0001E504
	v_add_f32_e64 v5, v5, 1.0                                  // 0000000040B8: D1010005 0001E505
	v_rcp_f32_e32 v2, v2                                       // 0000000040C0: 7E044502
	v_rcp_f32_e32 v3, v3                                       // 0000000040C4: 7E064503
	v_rcp_f32_e32 v4, v4                                       // 0000000040C8: 7E084504
	v_rcp_f32_e32 v5, v5                                       // 0000000040CC: 7E0A4505
	v_mul_f32_e32 v52, v52, v2                                 // 0000000040D0: 0A680534
	v_mul_f32_e32 v53, v53, v3                                 // 0000000040D4: 0A6A0735
	v_mul_f32_e32 v54, v54, v4                                 // 0000000040D8: 0A6C0936
	v_mul_f32_e32 v55, v55, v5                                 // 0000000040DC: 0A6E0B37
	v_mul_f32_e32 v52, v52, v84                                // 0000000040E0: 0A68A934
	v_mul_f32_e32 v53, v53, v85                                // 0000000040E4: 0A6AAB35
	v_mul_f32_e32 v54, v54, v86                                // 0000000040E8: 0A6CAD36
	v_mul_f32_e32 v55, v55, v87                                // 0000000040EC: 0A6EAF37
	s_waitcnt vmcnt(6)                                         // 0000000040F0: BF8C0F76
	buffer_load_dwordx4 a[24:27], v42, s[12:15], 0 offen offset:1024// 0000000040F4: E05C1400 8083182A
	v_mul_f32_e64 v2, -v56, s6                                 // 0000000040FC: D1050002 20000D38
	v_mul_f32_e64 v3, -v57, s6                                 // 000000004104: D1050003 20000D39
	v_mul_f32_e64 v4, -v58, s6                                 // 00000000410C: D1050004 20000D3A
	v_mul_f32_e64 v5, -v59, s6                                 // 000000004114: D1050005 20000D3B
	v_exp_f32_e32 v2, v2                                       // 00000000411C: 7E044102
	v_exp_f32_e32 v3, v3                                       // 000000004120: 7E064103
	v_exp_f32_e32 v4, v4                                       // 000000004124: 7E084104
	v_exp_f32_e32 v5, v5                                       // 000000004128: 7E0A4105
	buffer_load_dwordx4 a[28:31], v43, s[12:15], 0 offen offset:1024// 00000000412C: E05C1400 80831C2B
	v_add_f32_e64 v2, v2, 1.0                                  // 000000004134: D1010002 0001E502
	v_add_f32_e64 v3, v3, 1.0                                  // 00000000413C: D1010003 0001E503
	v_add_f32_e64 v4, v4, 1.0                                  // 000000004144: D1010004 0001E504
	v_add_f32_e64 v5, v5, 1.0                                  // 00000000414C: D1010005 0001E505
	v_rcp_f32_e32 v2, v2                                       // 000000004154: 7E044502
	v_rcp_f32_e32 v3, v3                                       // 000000004158: 7E064503
	v_rcp_f32_e32 v4, v4                                       // 00000000415C: 7E084504
	v_rcp_f32_e32 v5, v5                                       // 000000004160: 7E0A4505
	v_mul_f32_e32 v56, v56, v2                                 // 000000004164: 0A700538
	v_mul_f32_e32 v57, v57, v3                                 // 000000004168: 0A720739
	v_mul_f32_e32 v58, v58, v4                                 // 00000000416C: 0A74093A
	v_mul_f32_e32 v59, v59, v5                                 // 000000004170: 0A760B3B
	v_mul_f32_e32 v56, v56, v88                                // 000000004174: 0A70B138
	v_mul_f32_e32 v57, v57, v89                                // 000000004178: 0A72B339
	v_mul_f32_e32 v58, v58, v90                                // 00000000417C: 0A74B53A
	v_mul_f32_e32 v59, v59, v91                                // 000000004180: 0A76B73B
	s_waitcnt vmcnt(6)                                         // 000000004184: BF8C0F76
	v_mul_f32_e64 v2, -v60, s6                                 // 000000004188: D1050002 20000D3C
	v_mul_f32_e64 v3, -v61, s6                                 // 000000004190: D1050003 20000D3D
	v_mul_f32_e64 v4, -v62, s6                                 // 000000004198: D1050004 20000D3E
	v_mul_f32_e64 v5, -v63, s6                                 // 0000000041A0: D1050005 20000D3F
	v_exp_f32_e32 v2, v2                                       // 0000000041A8: 7E044102
	v_exp_f32_e32 v3, v3                                       // 0000000041AC: 7E064103
	v_exp_f32_e32 v4, v4                                       // 0000000041B0: 7E084104
	v_exp_f32_e32 v5, v5                                       // 0000000041B4: 7E0A4105
	v_add_f32_e64 v2, v2, 1.0                                  // 0000000041B8: D1010002 0001E502
	v_add_f32_e64 v3, v3, 1.0                                  // 0000000041C0: D1010003 0001E503
	v_add_f32_e64 v4, v4, 1.0                                  // 0000000041C8: D1010004 0001E504
	v_add_f32_e64 v5, v5, 1.0                                  // 0000000041D0: D1010005 0001E505
	v_rcp_f32_e32 v2, v2                                       // 0000000041D8: 7E044502
	v_rcp_f32_e32 v3, v3                                       // 0000000041DC: 7E064503
	v_rcp_f32_e32 v4, v4                                       // 0000000041E0: 7E084504
	v_rcp_f32_e32 v5, v5                                       // 0000000041E4: 7E0A4505
	v_mul_f32_e32 v60, v60, v2                                 // 0000000041E8: 0A78053C
	v_mul_f32_e32 v61, v61, v3                                 // 0000000041EC: 0A7A073D
	v_mul_f32_e32 v62, v62, v4                                 // 0000000041F0: 0A7C093E
	v_mul_f32_e32 v63, v63, v5                                 // 0000000041F4: 0A7E0B3F
	v_mul_f32_e32 v60, v60, v92                                // 0000000041F8: 0A78B93C
	v_mul_f32_e32 v61, v61, v93                                // 0000000041FC: 0A7ABB3D
	v_mul_f32_e32 v62, v62, v94                                // 000000004200: 0A7CBD3E
	v_mul_f32_e32 v63, v63, v95                                // 000000004204: 0A7EBF3F
	s_waitcnt vmcnt(6)                                         // 000000004208: BF8C0F76
	v_mul_f32_e64 v2, -v64, s6                                 // 00000000420C: D1050002 20000D40
	v_mul_f32_e64 v3, -v65, s6                                 // 000000004214: D1050003 20000D41
	v_mul_f32_e64 v4, -v66, s6                                 // 00000000421C: D1050004 20000D42
	v_mul_f32_e64 v5, -v67, s6                                 // 000000004224: D1050005 20000D43
	v_exp_f32_e32 v2, v2                                       // 00000000422C: 7E044102
	v_exp_f32_e32 v3, v3                                       // 000000004230: 7E064103
	v_exp_f32_e32 v4, v4                                       // 000000004234: 7E084104
	v_exp_f32_e32 v5, v5                                       // 000000004238: 7E0A4105
	v_add_f32_e64 v2, v2, 1.0                                  // 00000000423C: D1010002 0001E502
	v_add_f32_e64 v3, v3, 1.0                                  // 000000004244: D1010003 0001E503
	v_add_f32_e64 v4, v4, 1.0                                  // 00000000424C: D1010004 0001E504
	v_add_f32_e64 v5, v5, 1.0                                  // 000000004254: D1010005 0001E505
	v_rcp_f32_e32 v2, v2                                       // 00000000425C: 7E044502
	v_rcp_f32_e32 v3, v3                                       // 000000004260: 7E064503
	v_rcp_f32_e32 v4, v4                                       // 000000004264: 7E084504
	v_rcp_f32_e32 v5, v5                                       // 000000004268: 7E0A4505
	v_mul_f32_e32 v64, v64, v2                                 // 00000000426C: 0A800540
	v_mul_f32_e32 v65, v65, v3                                 // 000000004270: 0A820741
	v_mul_f32_e32 v66, v66, v4                                 // 000000004274: 0A840942
	v_mul_f32_e32 v67, v67, v5                                 // 000000004278: 0A860B43
	v_mul_f32_e32 v64, v64, v96                                // 00000000427C: 0A80C140
	v_mul_f32_e32 v65, v65, v97                                // 000000004280: 0A82C341
	v_mul_f32_e32 v66, v66, v98                                // 000000004284: 0A84C542
	v_mul_f32_e32 v67, v67, v99                                // 000000004288: 0A86C743
	s_waitcnt vmcnt(6)                                         // 00000000428C: BF8C0F76
	v_mul_f32_e64 v2, -v68, s6                                 // 000000004290: D1050002 20000D44
	v_mul_f32_e64 v3, -v69, s6                                 // 000000004298: D1050003 20000D45
	v_mul_f32_e64 v4, -v70, s6                                 // 0000000042A0: D1050004 20000D46
	v_mul_f32_e64 v5, -v71, s6                                 // 0000000042A8: D1050005 20000D47
	v_exp_f32_e32 v2, v2                                       // 0000000042B0: 7E044102
	v_exp_f32_e32 v3, v3                                       // 0000000042B4: 7E064103
	v_exp_f32_e32 v4, v4                                       // 0000000042B8: 7E084104
	v_exp_f32_e32 v5, v5                                       // 0000000042BC: 7E0A4105
	v_add_f32_e64 v2, v2, 1.0                                  // 0000000042C0: D1010002 0001E502
	v_add_f32_e64 v3, v3, 1.0                                  // 0000000042C8: D1010003 0001E503
	v_add_f32_e64 v4, v4, 1.0                                  // 0000000042D0: D1010004 0001E504
	v_add_f32_e64 v5, v5, 1.0                                  // 0000000042D8: D1010005 0001E505
	v_rcp_f32_e32 v2, v2                                       // 0000000042E0: 7E044502
	v_rcp_f32_e32 v3, v3                                       // 0000000042E4: 7E064503
	v_rcp_f32_e32 v4, v4                                       // 0000000042E8: 7E084504
	v_rcp_f32_e32 v5, v5                                       // 0000000042EC: 7E0A4505
	v_mul_f32_e32 v68, v68, v2                                 // 0000000042F0: 0A880544
	v_mul_f32_e32 v69, v69, v3                                 // 0000000042F4: 0A8A0745
	v_mul_f32_e32 v70, v70, v4                                 // 0000000042F8: 0A8C0946
	v_mul_f32_e32 v71, v71, v5                                 // 0000000042FC: 0A8E0B47
	v_mul_f32_e32 v68, v68, v100                               // 000000004300: 0A88C944
	v_mul_f32_e32 v69, v69, v101                               // 000000004304: 0A8ACB45
	v_mul_f32_e32 v70, v70, v102                               // 000000004308: 0A8CCD46
	v_mul_f32_e32 v71, v71, v103                               // 00000000430C: 0A8ECF47
	s_waitcnt vmcnt(6)                                         // 000000004310: BF8C0F76
	v_mul_f32_e64 v2, -v72, s6                                 // 000000004314: D1050002 20000D48
	v_mul_f32_e64 v3, -v73, s6                                 // 00000000431C: D1050003 20000D49
	v_mul_f32_e64 v4, -v74, s6                                 // 000000004324: D1050004 20000D4A
	v_mul_f32_e64 v5, -v75, s6                                 // 00000000432C: D1050005 20000D4B
	v_exp_f32_e32 v2, v2                                       // 000000004334: 7E044102
	v_exp_f32_e32 v3, v3                                       // 000000004338: 7E064103
	v_exp_f32_e32 v4, v4                                       // 00000000433C: 7E084104
	v_exp_f32_e32 v5, v5                                       // 000000004340: 7E0A4105
	v_add_f32_e64 v2, v2, 1.0                                  // 000000004344: D1010002 0001E502
	v_add_f32_e64 v3, v3, 1.0                                  // 00000000434C: D1010003 0001E503
	v_add_f32_e64 v4, v4, 1.0                                  // 000000004354: D1010004 0001E504
	v_add_f32_e64 v5, v5, 1.0                                  // 00000000435C: D1010005 0001E505
	v_rcp_f32_e32 v2, v2                                       // 000000004364: 7E044502
	v_rcp_f32_e32 v3, v3                                       // 000000004368: 7E064503
	v_rcp_f32_e32 v4, v4                                       // 00000000436C: 7E084504
	v_rcp_f32_e32 v5, v5                                       // 000000004370: 7E0A4505
	v_mul_f32_e32 v72, v72, v2                                 // 000000004374: 0A900548
	v_mul_f32_e32 v73, v73, v3                                 // 000000004378: 0A920749
	v_mul_f32_e32 v74, v74, v4                                 // 00000000437C: 0A94094A
	v_mul_f32_e32 v75, v75, v5                                 // 000000004380: 0A960B4B
	v_mul_f32_e32 v72, v72, v104                               // 000000004384: 0A90D148
	v_mul_f32_e32 v73, v73, v105                               // 000000004388: 0A92D349
	v_mul_f32_e32 v74, v74, v106                               // 00000000438C: 0A94D54A
	v_mul_f32_e32 v75, v75, v107                               // 000000004390: 0A96D74B
	v_lshlrev_b32_e32 v2, 2, v0                                // 000000004394: 24040082
	s_mul_i32 s60, s82, s71                                    // 000000004398: 923C4752
	v_add_u32_e64 v92, v2, s60                                 // 00000000439C: D134005C 00007902
	v_mov_b32_e32 v93, 0                                       // 0000000043A4: 7EBA0280
	s_mul_i32 s60, s83, s71                                    // 0000000043A8: 923C4753
	v_add_u32_e64 v94, v2, s60                                 // 0000000043AC: D134005E 00007902
	v_mov_b32_e32 v95, 0                                       // 0000000043B4: 7EBE0280
	s_mul_i32 s60, s84, s71                                    // 0000000043B8: 923C4754
	v_add_u32_e64 v96, v2, s60                                 // 0000000043BC: D1340060 00007902
	v_mov_b32_e32 v97, 0                                       // 0000000043C4: 7EC20280
	s_mul_i32 s60, s85, s71                                    // 0000000043C8: 923C4755
	v_add_u32_e64 v98, v2, s60                                 // 0000000043CC: D1340062 00007902
	v_mov_b32_e32 v99, 0                                       // 0000000043D4: 7EC60280
	s_mul_i32 s60, s86, s71                                    // 0000000043D8: 923C4756
	v_add_u32_e64 v100, v2, s60                                // 0000000043DC: D1340064 00007902
	v_mov_b32_e32 v101, 0                                      // 0000000043E4: 7ECA0280
	s_mul_i32 s60, s87, s71                                    // 0000000043E8: 923C4757
	v_add_u32_e64 v102, v2, s60                                // 0000000043EC: D1340066 00007902
	v_mov_b32_e32 v103, 0                                      // 0000000043F4: 7ECE0280
	s_mul_i32 s60, s88, s71                                    // 0000000043F8: 923C4758
	v_add_u32_e64 v104, v2, s60                                // 0000000043FC: D1340068 00007902
	v_mov_b32_e32 v105, 0                                      // 000000004404: 7ED20280
	s_mul_i32 s60, s89, s71                                    // 000000004408: 923C4759
	v_add_u32_e64 v106, v2, s60                                // 00000000440C: D134006A 00007902
	v_mov_b32_e32 v107, 0                                      // 000000004414: 7ED60280
	buffer_load_dword v21, v10, s[16:19], 0 offen              // 000000004418: E0501000 8004150A
	buffer_load_dword v22, v11, s[16:19], 0 offen              // 000000004420: E0501000 8004160B
	v_mov_b32_e32 v31, 0x358637bd                              // 000000004428: 7E3E02FF 358637BD
	v_mov_b32_e32 v32, 0x358637bd                              // 000000004430: 7E4002FF 358637BD
	v_max3_f32 v31, |v44|, |v45|, v31                          // 000000004438: D1D3031F 047E5B2C
	v_max3_f32 v31, |v46|, |v47|, v31                          // 000000004440: D1D3031F 047E5F2E
	v_max3_f32 v31, |v48|, |v49|, v31                          // 000000004448: D1D3031F 047E6330
	v_max3_f32 v31, |v50|, |v51|, v31                          // 000000004450: D1D3031F 047E6732
	v_max3_f32 v32, |v60|, |v61|, v32                          // 000000004458: D1D30320 04827B3C
	v_max3_f32 v32, |v62|, |v63|, v32                          // 000000004460: D1D30320 04827F3E
	v_max3_f32 v32, |v64|, |v65|, v32                          // 000000004468: D1D30320 04828340
	v_max3_f32 v32, |v66|, |v67|, v32                          // 000000004470: D1D30320 04828742
	v_mov_b32_e32 v2, v31                                      // 000000004478: 7E04031F
	s_nop 1                                                    // 00000000447C: BF800001
	v_permlane32_swap_b32_e32 v2, v31                          // 000000004480: 7E04B51F
	v_max_f32_e32 v31, v2, v31                                 // 000000004484: 163E3F02
	v_mov_b32_e32 v2, v31                                      // 000000004488: 7E04031F
	s_nop 1                                                    // 00000000448C: BF800001
	v_permlane16_swap_b32_e32 v2, v31                          // 000000004490: 7E04B31F
	v_max_f32_e32 v31, v2, v31                                 // 000000004494: 163E3F02
	v_mov_b32_e32 v2, v32                                      // 000000004498: 7E040320
	s_nop 1                                                    // 00000000449C: BF800001
	v_permlane32_swap_b32_e32 v2, v32                          // 0000000044A0: 7E04B520
	v_max_f32_e32 v32, v2, v32                                 // 0000000044A4: 16404102
	v_mov_b32_e32 v2, v32                                      // 0000000044A8: 7E040320
	s_nop 1                                                    // 0000000044AC: BF800001
	v_permlane16_swap_b32_e32 v2, v32                          // 0000000044B0: 7E04B320
	v_max_f32_e32 v32, v2, v32                                 // 0000000044B4: 16404102
	v_mov_b32_e32 v2, 0x3e800000                               // 0000000044B8: 7E0402FF 3E800000
	v_mul_f32_e32 v31, v2, v31                                 // 0000000044C0: 0A3E3F02
	v_mul_f32_e32 v32, v2, v32                                 // 0000000044C4: 0A404102
	v_mov_b32_e32 v1, 0x7fff0000                               // 0000000044C8: 7E0202FF 7FFF0000
	v_mov_b32_e32 v5, 0x7fbfffff                               // 0000000044D0: 7E0A02FF 7FBFFFFF
	v_bfe_u32 v2, v31, 22, 1                                   // 0000000044D8: D1C80002 02052D1F
	v_and_b32_e32 v3, v31, v5                                  // 0000000044E0: 26060B1F
	v_cmp_eq_u32_e64 s[60:61], v3, 0                           // 0000000044E4: D0CA003C 00010103
	v_cndmask_b32_e64 v4, 1, 0, s[60:61]                       // 0000000044EC: D1000004 00F10081
	v_and_b32_e32 v4, v4, v2                                   // 0000000044F4: 26080504
	v_bfe_u32 v5, v31, 23, 8                                   // 0000000044F8: D1C80005 02212F1F
	v_add_u32_e32 v5, v5, v4                                   // 000000004500: 680A0905
	v_cmp_u_f32_e64 s[60:61], v31, v31                         // 000000004504: D048003C 00023F1F
	v_lshlrev_b32_e32 v31, 23, v5                              // 00000000450C: 243E0A97
	v_cndmask_b32_e64 v31, v31, v1, s[60:61]                   // 000000004510: D100001F 00F2031F
	v_mov_b32_e32 v5, 0x7fbfffff                               // 000000004518: 7E0A02FF 7FBFFFFF
	v_bfe_u32 v2, v32, 22, 1                                   // 000000004520: D1C80002 02052D20
	v_and_b32_e32 v3, v32, v5                                  // 000000004528: 26060B20
	v_cmp_eq_u32_e64 s[60:61], v3, 0                           // 00000000452C: D0CA003C 00010103
	v_cndmask_b32_e64 v4, 1, 0, s[60:61]                       // 000000004534: D1000004 00F10081
	v_and_b32_e32 v4, v4, v2                                   // 00000000453C: 26080504
	v_bfe_u32 v5, v32, 23, 8                                   // 000000004540: D1C80005 02212F20
	v_add_u32_e32 v5, v5, v4                                   // 000000004548: 680A0905
	v_cmp_u_f32_e64 s[60:61], v32, v32                         // 00000000454C: D048003C 00024120
	v_lshlrev_b32_e32 v32, 23, v5                              // 000000004554: 24400A97
	v_cndmask_b32_e64 v32, v32, v1, s[60:61]                   // 000000004558: D1000020 00F20320
	s_mov_b32 s60, 0xffff                                      // 000000004560: BEBC00FF 0000FFFF
	v_cvt_scalef32_pk_fp4_f32 v44, v44, v45, v31               // 000000004568: D23D002C 047E5B2C
	v_cvt_scalef32_pk_fp4_f32 v44, v46, v47, v31 op_sel:[0,0,1,0]// 000000004570: D23D202C 047E5F2E
	v_cvt_scalef32_pk_fp4_f32 v48, v48, v49, v31               // 000000004578: D23D0030 047E6330
	v_cvt_scalef32_pk_fp4_f32 v48, v50, v51, v31 op_sel:[0,0,1,0]// 000000004580: D23D2030 047E6732
	s_nop 1                                                    // 000000004588: BF800001
	v_permlane16_swap_b32_e32 v44, v48                         // 00000000458C: 7E58B330
	s_nop 1                                                    // 000000004590: BF800001
	v_and_b32_e64 v44, v44, s60                                // 000000004594: D113002C 0000792C
	v_lshlrev_b32_e32 v48, 16, v48                             // 00000000459C: 24606090
	v_or_b32_e32 v44, v44, v48                                 // 0000000045A0: 2858612C
	v_mov_b32_e32 v48, v44                                     // 0000000045A4: 7E60032C
	s_nop 1                                                    // 0000000045A8: BF800001
	v_permlane32_swap_b32_e32 v44, v48                         // 0000000045AC: 7E58B530
	s_nop 1                                                    // 0000000045B0: BF800001
	v_permlane16_swap_b32_e32 v44, v48                         // 0000000045B4: 7E58B330
	s_nop 1                                                    // 0000000045B8: BF800001
	v_permlane32_swap_b32_e32 v44, v48                         // 0000000045BC: 7E58B530
	s_nop 1                                                    // 0000000045C0: BF800001
	v_cvt_scalef32_pk_fp4_f32 v60, v60, v61, v32               // 0000000045C4: D23D003C 04827B3C
	v_cvt_scalef32_pk_fp4_f32 v60, v62, v63, v32 op_sel:[0,0,1,0]// 0000000045CC: D23D203C 04827F3E
	v_cvt_scalef32_pk_fp4_f32 v64, v64, v65, v32               // 0000000045D4: D23D0040 04828340
	v_cvt_scalef32_pk_fp4_f32 v64, v66, v67, v32 op_sel:[0,0,1,0]// 0000000045DC: D23D2040 04828742
	s_nop 1                                                    // 0000000045E4: BF800001
	v_permlane16_swap_b32_e32 v60, v64                         // 0000000045E8: 7E78B340
	s_nop 1                                                    // 0000000045EC: BF800001
	v_and_b32_e64 v60, v60, s60                                // 0000000045F0: D113003C 0000793C
	v_lshlrev_b32_e32 v64, 16, v64                             // 0000000045F8: 24808090
	v_or_b32_e32 v60, v60, v64                                 // 0000000045FC: 2878813C
	v_mov_b32_e32 v64, v60                                     // 000000004600: 7E80033C
	s_nop 1                                                    // 000000004604: BF800001
	v_permlane32_swap_b32_e32 v60, v64                         // 000000004608: 7E78B540
	s_nop 1                                                    // 00000000460C: BF800001
	v_permlane16_swap_b32_e32 v60, v64                         // 000000004610: 7E78B340
	s_nop 1                                                    // 000000004614: BF800001
	v_permlane32_swap_b32_e32 v60, v64                         // 000000004618: 7E78B540
	s_nop 1                                                    // 00000000461C: BF800001
	v_mov_b32_e32 v33, 0x358637bd                              // 000000004620: 7E4202FF 358637BD
	v_mov_b32_e32 v34, 0x358637bd                              // 000000004628: 7E4402FF 358637BD
	v_max3_f32 v33, |v52|, |v53|, v33                          // 000000004630: D1D30321 04866B34
	v_max3_f32 v33, |v54|, |v55|, v33                          // 000000004638: D1D30321 04866F36
	v_max3_f32 v33, |v56|, |v57|, v33                          // 000000004640: D1D30321 04867338
	v_max3_f32 v33, |v58|, |v59|, v33                          // 000000004648: D1D30321 0486773A
	v_max3_f32 v34, |v68|, |v69|, v34                          // 000000004650: D1D30322 048A8B44
	v_max3_f32 v34, |v70|, |v71|, v34                          // 000000004658: D1D30322 048A8F46
	v_max3_f32 v34, |v72|, |v73|, v34                          // 000000004660: D1D30322 048A9348
	v_max3_f32 v34, |v74|, |v75|, v34                          // 000000004668: D1D30322 048A974A
	v_mov_b32_e32 v2, v33                                      // 000000004670: 7E040321
	s_nop 1                                                    // 000000004674: BF800001
	v_permlane32_swap_b32_e32 v2, v33                          // 000000004678: 7E04B521
	v_max_f32_e32 v33, v2, v33                                 // 00000000467C: 16424302
	v_mov_b32_e32 v2, v33                                      // 000000004680: 7E040321
	s_nop 1                                                    // 000000004684: BF800001
	v_permlane16_swap_b32_e32 v2, v33                          // 000000004688: 7E04B321
	v_max_f32_e32 v33, v2, v33                                 // 00000000468C: 16424302
	v_mov_b32_e32 v2, v34                                      // 000000004690: 7E040322
	s_nop 1                                                    // 000000004694: BF800001
	v_permlane32_swap_b32_e32 v2, v34                          // 000000004698: 7E04B522
	v_max_f32_e32 v34, v2, v34                                 // 00000000469C: 16444502
	v_mov_b32_e32 v2, v34                                      // 0000000046A0: 7E040322
	s_nop 1                                                    // 0000000046A4: BF800001
	v_permlane16_swap_b32_e32 v2, v34                          // 0000000046A8: 7E04B322
	v_max_f32_e32 v34, v2, v34                                 // 0000000046AC: 16444502
	v_mov_b32_e32 v2, 0x3e800000                               // 0000000046B0: 7E0402FF 3E800000
	v_mul_f32_e32 v33, v2, v33                                 // 0000000046B8: 0A424302
	v_mul_f32_e32 v34, v2, v34                                 // 0000000046BC: 0A444502
	v_mov_b32_e32 v1, 0x7fff0000                               // 0000000046C0: 7E0202FF 7FFF0000
	v_mov_b32_e32 v5, 0x7fbfffff                               // 0000000046C8: 7E0A02FF 7FBFFFFF
	v_bfe_u32 v2, v33, 22, 1                                   // 0000000046D0: D1C80002 02052D21
	v_and_b32_e32 v3, v33, v5                                  // 0000000046D8: 26060B21
	v_cmp_eq_u32_e64 s[60:61], v3, 0                           // 0000000046DC: D0CA003C 00010103
	v_cndmask_b32_e64 v4, 1, 0, s[60:61]                       // 0000000046E4: D1000004 00F10081
	v_and_b32_e32 v4, v4, v2                                   // 0000000046EC: 26080504
	v_bfe_u32 v5, v33, 23, 8                                   // 0000000046F0: D1C80005 02212F21
	v_add_u32_e32 v5, v5, v4                                   // 0000000046F8: 680A0905
	v_cmp_u_f32_e64 s[60:61], v33, v33                         // 0000000046FC: D048003C 00024321
	v_lshlrev_b32_e32 v33, 23, v5                              // 000000004704: 24420A97
	v_cndmask_b32_e64 v33, v33, v1, s[60:61]                   // 000000004708: D1000021 00F20321
	v_mov_b32_e32 v5, 0x7fbfffff                               // 000000004710: 7E0A02FF 7FBFFFFF
	v_bfe_u32 v2, v34, 22, 1                                   // 000000004718: D1C80002 02052D22
	v_and_b32_e32 v3, v34, v5                                  // 000000004720: 26060B22
	v_cmp_eq_u32_e64 s[60:61], v3, 0                           // 000000004724: D0CA003C 00010103
	v_cndmask_b32_e64 v4, 1, 0, s[60:61]                       // 00000000472C: D1000004 00F10081
	v_and_b32_e32 v4, v4, v2                                   // 000000004734: 26080504
	v_bfe_u32 v5, v34, 23, 8                                   // 000000004738: D1C80005 02212F22
	v_add_u32_e32 v5, v5, v4                                   // 000000004740: 680A0905
	v_cmp_u_f32_e64 s[60:61], v34, v34                         // 000000004744: D048003C 00024522
	v_lshlrev_b32_e32 v34, 23, v5                              // 00000000474C: 24440A97
	v_cndmask_b32_e64 v34, v34, v1, s[60:61]                   // 000000004750: D1000022 00F20322
	s_mov_b32 s60, 0xffff                                      // 000000004758: BEBC00FF 0000FFFF
	v_cvt_scalef32_pk_fp4_f32 v52, v52, v53, v33               // 000000004760: D23D0034 04866B34
	v_cvt_scalef32_pk_fp4_f32 v52, v54, v55, v33 op_sel:[0,0,1,0]// 000000004768: D23D2034 04866F36
	v_cvt_scalef32_pk_fp4_f32 v56, v56, v57, v33               // 000000004770: D23D0038 04867338
	v_cvt_scalef32_pk_fp4_f32 v56, v58, v59, v33 op_sel:[0,0,1,0]// 000000004778: D23D2038 0486773A
	s_nop 1                                                    // 000000004780: BF800001
	v_permlane16_swap_b32_e32 v52, v56                         // 000000004784: 7E68B338
	s_nop 1                                                    // 000000004788: BF800001
	v_and_b32_e64 v52, v52, s60                                // 00000000478C: D1130034 00007934
	v_lshlrev_b32_e32 v56, 16, v56                             // 000000004794: 24707090
	v_or_b32_e32 v52, v52, v56                                 // 000000004798: 28687134
	v_mov_b32_e32 v56, v52                                     // 00000000479C: 7E700334
	s_nop 1                                                    // 0000000047A0: BF800001
	v_permlane32_swap_b32_e32 v52, v56                         // 0000000047A4: 7E68B538
	s_nop 1                                                    // 0000000047A8: BF800001
	v_permlane16_swap_b32_e32 v52, v56                         // 0000000047AC: 7E68B338
	s_nop 1                                                    // 0000000047B0: BF800001
	v_permlane32_swap_b32_e32 v52, v56                         // 0000000047B4: 7E68B538
	s_nop 1                                                    // 0000000047B8: BF800001
	v_cvt_scalef32_pk_fp4_f32 v68, v68, v69, v34               // 0000000047BC: D23D0044 048A8B44
	v_cvt_scalef32_pk_fp4_f32 v68, v70, v71, v34 op_sel:[0,0,1,0]// 0000000047C4: D23D2044 048A8F46
	v_cvt_scalef32_pk_fp4_f32 v72, v72, v73, v34               // 0000000047CC: D23D0048 048A9348
	v_cvt_scalef32_pk_fp4_f32 v72, v74, v75, v34 op_sel:[0,0,1,0]// 0000000047D4: D23D2048 048A974A
	s_nop 1                                                    // 0000000047DC: BF800001
	v_permlane16_swap_b32_e32 v68, v72                         // 0000000047E0: 7E88B348
	s_nop 1                                                    // 0000000047E4: BF800001
	v_and_b32_e64 v68, v68, s60                                // 0000000047E8: D1130044 00007944
	v_lshlrev_b32_e32 v72, 16, v72                             // 0000000047F0: 24909090
	v_or_b32_e32 v68, v68, v72                                 // 0000000047F4: 28889144
	v_mov_b32_e32 v72, v68                                     // 0000000047F8: 7E900344
	s_nop 1                                                    // 0000000047FC: BF800001
	v_permlane32_swap_b32_e32 v68, v72                         // 000000004800: 7E88B548
	s_nop 1                                                    // 000000004804: BF800001
	v_permlane16_swap_b32_e32 v68, v72                         // 000000004808: 7E88B348
	s_nop 1                                                    // 00000000480C: BF800001
	v_permlane32_swap_b32_e32 v68, v72                         // 000000004810: 7E88B548
	s_nop 1                                                    // 000000004814: BF800001
	v_lshrrev_b32_e32 v2, 5, v0                                // 000000004818: 20040085
	v_lshlrev_b32_e32 v3, 6, v2                                // 00000000481C: 24060486
	v_and_b32_e32 v2, 31, v0                                   // 000000004820: 2604009F
	v_lshrrev_b32_e32 v4, 4, v2                                // 000000004824: 20080484
	v_add_u32_e32 v3, v4, v3                                   // 000000004828: 68060704
	v_and_b32_e32 v2, 15, v0                                   // 00000000482C: 2604008F
	v_lshlrev_b32_e32 v2, 1, v2                                // 000000004830: 24040481
	v_add_u32_e32 v3, v2, v3                                   // 000000004834: 68060702
	v_lshlrev_b32_e32 v2, 2, v3                                // 000000004838: 24040682
	s_mov_b32 s60, 0                                           // 00000000483C: BEBC0080
	s_lshr_b32 s61, s7, 1                                      // 000000004840: 8F3D8107
	s_mul_i32 s61, s61, 0x200                                  // 000000004844: 923DFF3D 00000200
	s_add_u32 s60, s61, s60                                    // 00000000484C: 803C3C3D
	s_and_b32 s61, s7, 1                                       // 000000004850: 863D8107
	s_mul_i32 s61, s61, 0x80                                   // 000000004854: 923DFF3D 00000080
	s_add_u32 s60, s61, s60                                    // 00000000485C: 803C3C3D
	v_add_u32_e64 v2, v2, s60                                  // 000000004860: D1340002 00007902
	ds_write_b32 v2, v44                                       // 000000004868: D81A0000 00002C02
	ds_write_b32 v2, v52 offset:1024                           // 000000004870: D81A0400 00003402
	ds_write_b32 v2, v60 offset:2048                           // 000000004878: D81A0800 00003C02
	ds_write_b32 v2, v68 offset:3072                           // 000000004880: D81A0C00 00004402
	s_waitcnt lgkmcnt(0)                                       // 000000004888: BF8CC07F
	s_barrier                                                  // 00000000488C: BF8A0000
	v_and_b32_e32 v2, 31, v0                                   // 000000004890: 2604009F
	v_lshrrev_b32_e32 v2, 4, v2                                // 000000004894: 20040484
	v_lshlrev_b32_e32 v3, 5, v2                                // 000000004898: 24060485
	v_lshrrev_b32_e32 v2, 5, v0                                // 00000000489C: 20040085
	v_lshlrev_b32_e32 v2, 7, v2                                // 0000000048A0: 24040487
	v_add_u32_e32 v3, v2, v3                                   // 0000000048A4: 68060702
	v_and_b32_e32 v2, 15, v0                                   // 0000000048A8: 2604008F
	v_lshlrev_b32_e32 v2, 1, v2                                // 0000000048AC: 24040481
	v_add_u32_e32 v3, v2, v3                                   // 0000000048B0: 68060702
	v_lshlrev_b32_e32 v2, 2, v3                                // 0000000048B4: 24040682
	ds_read_b64 v[44:45], v2                                   // 0000000048B8: D8EC0000 2C000002
	ds_read_b64 v[46:47], v2 offset:256                        // 0000000048C0: D8EC0100 2E000002
	ds_read_b64 v[48:49], v2 offset:1024                       // 0000000048C8: D8EC0400 30000002
	ds_read_b64 v[50:51], v2 offset:1280                       // 0000000048D0: D8EC0500 32000002
	ds_read_b64 v[52:53], v2 offset:2048                       // 0000000048D8: D8EC0800 34000002
	ds_read_b64 v[54:55], v2 offset:2304                       // 0000000048E0: D8EC0900 36000002
	ds_read_b64 v[56:57], v2 offset:3072                       // 0000000048E8: D8EC0C00 38000002
	ds_read_b64 v[58:59], v2 offset:3328                       // 0000000048F0: D8EC0D00 3A000002
	s_waitcnt lgkmcnt(0)                                       // 0000000048F8: BF8CC07F
	s_barrier                                                  // 0000000048FC: BF8A0000
	v_lshrrev_b32_e32 v2, 5, v0                                // 000000004900: 20040085
	v_lshlrev_b32_e32 v3, 6, v2                                // 000000004904: 24060486
	v_and_b32_e32 v2, 31, v0                                   // 000000004908: 2604009F
	v_lshrrev_b32_e32 v4, 4, v2                                // 00000000490C: 20080484
	v_add_u32_e32 v3, v4, v3                                   // 000000004910: 68060704
	v_and_b32_e32 v2, 15, v0                                   // 000000004914: 2604008F
	v_lshlrev_b32_e32 v2, 1, v2                                // 000000004918: 24040481
	v_add_u32_e32 v3, v2, v3                                   // 00000000491C: 68060702
	v_lshlrev_b32_e32 v2, 2, v3                                // 000000004920: 24040682
	s_mov_b32 s60, 0                                           // 000000004924: BEBC0080
	s_lshr_b32 s61, s7, 1                                      // 000000004928: 8F3D8107
	s_mul_i32 s61, s61, 0x200                                  // 00000000492C: 923DFF3D 00000200
	s_add_u32 s60, s61, s60                                    // 000000004934: 803C3C3D
	s_and_b32 s61, s7, 1                                       // 000000004938: 863D8107
	s_mul_i32 s61, s61, 0x80                                   // 00000000493C: 923DFF3D 00000080
	s_add_u32 s60, s61, s60                                    // 000000004944: 803C3C3D
	v_add_u32_e64 v2, v2, s60                                  // 000000004948: D1340002 00007902
	ds_write_b32 v2, v31                                       // 000000004950: D81A0000 00001F02
	ds_write_b32 v2, v33 offset:1024                           // 000000004958: D81A0400 00002102
	ds_write_b32 v2, v32 offset:2048                           // 000000004960: D81A0800 00002002
	ds_write_b32 v2, v34 offset:3072                           // 000000004968: D81A0C00 00002202
	s_waitcnt lgkmcnt(0)                                       // 000000004970: BF8CC07F
	s_barrier                                                  // 000000004974: BF8A0000
	v_and_b32_e32 v2, 31, v0                                   // 000000004978: 2604009F
	v_lshrrev_b32_e32 v2, 4, v2                                // 00000000497C: 20040484
	v_lshlrev_b32_e32 v3, 5, v2                                // 000000004980: 24060485
	v_lshrrev_b32_e32 v2, 5, v0                                // 000000004984: 20040085
	v_lshlrev_b32_e32 v2, 7, v2                                // 000000004988: 24040487
	v_add_u32_e32 v3, v2, v3                                   // 00000000498C: 68060702
	v_and_b32_e32 v2, 15, v0                                   // 000000004990: 2604008F
	v_lshlrev_b32_e32 v2, 1, v2                                // 000000004994: 24040481
	v_add_u32_e32 v3, v2, v3                                   // 000000004998: 68060702
	v_lshlrev_b32_e32 v2, 2, v3                                // 00000000499C: 24040682
	ds_read_b32 v31, v2                                        // 0000000049A0: D86C0000 1F000002
	ds_read_b32 v33, v2 offset:1024                            // 0000000049A8: D86C0400 21000002
	ds_read_b32 v32, v2 offset:2048                            // 0000000049B0: D86C0800 20000002
	ds_read_b32 v34, v2 offset:3072                            // 0000000049B8: D86C0C00 22000002
	s_waitcnt lgkmcnt(0)                                       // 0000000049C0: BF8CC07F
	s_barrier                                                  // 0000000049C4: BF8A0000
	v_bfe_u32 v31, v31, 23, 8                                  // 0000000049C8: D1C8001F 02212F1F
	v_bfe_u32 v32, v32, 23, 8                                  // 0000000049D0: D1C80020 02212F20
	v_bfe_u32 v33, v33, 23, 8                                  // 0000000049D8: D1C80021 02212F21
	v_bfe_u32 v34, v34, 23, 8                                  // 0000000049E0: D1C80022 02212F22
	v_mov_b32_e32 v2, 0                                        // 0000000049E8: 7E040280
	v_lshlrev_b32_e32 v31, 0, v31                              // 0000000049EC: 243E3E80
	v_or_b32_e32 v2, v2, v31                                   // 0000000049F0: 28043F02
	v_lshlrev_b32_e32 v32, 8, v32                              // 0000000049F4: 24404088
	v_or_b32_e32 v2, v2, v32                                   // 0000000049F8: 28044102
	v_lshlrev_b32_e32 v33, 16, v33                             // 0000000049FC: 24424290
	v_or_b32_e32 v2, v2, v33                                   // 000000004A00: 28044302
	v_lshlrev_b32_e32 v34, 24, v34                             // 000000004A04: 24444498
	v_or_b32_e32 v2, v2, v34                                   // 000000004A08: 28044502
	v_mov_b32_e32 v31, v2                                      // 000000004A0C: 7E3E0302
	s_add_u32 s12, s56, s12                                    // 000000004A10: 800C0C38
	s_addc_u32 s13, 0, s13                                     // 000000004A14: 820D0D80
	s_add_u32 s16, s79, s16                                    // 000000004A18: 8010104F
	s_addc_u32 s17, 0, s17                                     // 000000004A1C: 82111180
	s_waitcnt lgkmcnt(0)                                       // 000000004A20: BF8CC07F
	s_barrier                                                  // 000000004A24: BF8A0000
	v_mov_b32_e32 v108, 0                                      // 000000004A28: 7ED80280
	v_mov_b32_e32 v140, 0                                      // 000000004A2C: 7F180280
	v_mov_b32_e32 v109, 0                                      // 000000004A30: 7EDA0280
	v_mov_b32_e32 v141, 0                                      // 000000004A34: 7F1A0280
	v_mov_b32_e32 v110, 0                                      // 000000004A38: 7EDC0280
	v_mov_b32_e32 v142, 0                                      // 000000004A3C: 7F1C0280
	v_mov_b32_e32 v111, 0                                      // 000000004A40: 7EDE0280
	v_mov_b32_e32 v143, 0                                      // 000000004A44: 7F1E0280
	v_mov_b32_e32 v112, 0                                      // 000000004A48: 7EE00280
	v_mov_b32_e32 v144, 0                                      // 000000004A4C: 7F200280
	v_mov_b32_e32 v113, 0                                      // 000000004A50: 7EE20280
	v_mov_b32_e32 v145, 0                                      // 000000004A54: 7F220280
	v_mov_b32_e32 v114, 0                                      // 000000004A58: 7EE40280
	v_mov_b32_e32 v146, 0                                      // 000000004A5C: 7F240280
	v_mov_b32_e32 v115, 0                                      // 000000004A60: 7EE60280
	v_mov_b32_e32 v147, 0                                      // 000000004A64: 7F260280
	v_mov_b32_e32 v116, 0                                      // 000000004A68: 7EE80280
	v_mov_b32_e32 v148, 0                                      // 000000004A6C: 7F280280
	v_mov_b32_e32 v117, 0                                      // 000000004A70: 7EEA0280
	v_mov_b32_e32 v149, 0                                      // 000000004A74: 7F2A0280
	v_mov_b32_e32 v118, 0                                      // 000000004A78: 7EEC0280
	v_mov_b32_e32 v150, 0                                      // 000000004A7C: 7F2C0280
	v_mov_b32_e32 v119, 0                                      // 000000004A80: 7EEE0280
	v_mov_b32_e32 v151, 0                                      // 000000004A84: 7F2E0280
	v_mov_b32_e32 v120, 0                                      // 000000004A88: 7EF00280
	v_mov_b32_e32 v152, 0                                      // 000000004A8C: 7F300280
	v_mov_b32_e32 v121, 0                                      // 000000004A90: 7EF20280
	v_mov_b32_e32 v153, 0                                      // 000000004A94: 7F320280
	v_mov_b32_e32 v122, 0                                      // 000000004A98: 7EF40280
	v_mov_b32_e32 v154, 0                                      // 000000004A9C: 7F340280
	v_mov_b32_e32 v123, 0                                      // 000000004AA0: 7EF60280
	v_mov_b32_e32 v155, 0                                      // 000000004AA4: 7F360280
	ds_write_b64 v8, v[108:109]                                // 000000004AA8: D89A0000 00006C08
	ds_write_b64 v8, v[110:111] offset:8704                    // 000000004AB0: D89A2200 00006E08
	ds_write_b64 v8, v[112:113] offset:544                     // 000000004AB8: D89A0220 00007008
	ds_write_b64 v8, v[114:115] offset:9248                    // 000000004AC0: D89A2420 00007208
	ds_write_b64 v8, v[116:117] offset:4352                    // 000000004AC8: D89A1100 00007408
	ds_write_b64 v8, v[118:119] offset:13056                   // 000000004AD0: D89A3300 00007608
	ds_write_b64 v8, v[120:121] offset:4896                    // 000000004AD8: D89A1320 00007808
	ds_write_b64 v8, v[122:123] offset:13600                   // 000000004AE0: D89A3520 00007A08
	s_mov_b32 s80, 0                                           // 000000004AE8: BED00080
	s_waitcnt vmcnt(0) expcnt(0) lgkmcnt(0)                    // 000000004AEC: BF8C0000

0000000000004af0 <label_073C>:
	s_waitcnt vmcnt(22) lgkmcnt(0)                             // 000000004AF0: BF8C4076
	s_barrier                                                  // 000000004AF4: BF8A0000
	v_mfma_scale_f32_16x16x128_f8f6f4 v[108:111], a[0:3], v[44:47], 0, v21, v31 op_sel_hi:[0,0,0] cbsz:4 blgp:4// 000000004AF8: D3AC6000 00023F15 D3AD0C6C 8A025900
	ds_read_b32 v76, v9                                        // 000000004B08: D86C0000 4C000009
	ds_read_b32 v77, v9 offset:4352                            // 000000004B10: D86C1100 4D000009
	ds_read_b32 v78, v9 offset:8                               // 000000004B18: D86C0008 4E000009
	ds_read_b32 v79, v9 offset:4360                            // 000000004B20: D86C1108 4F000009
	v_mfma_scale_f32_16x16x128_f8f6f4 v[112:115], a[0:3], v[52:55], 0, v21, v31 op_sel_hi:[0,0,0] cbsz:4 blgp:4// 000000004B28: D3AC1000 00023F15 D3AD0C70 8A026900
	buffer_load_dwordx4 a[32:35], v40, s[12:15], 0 offen       // 000000004B38: E05C1000 80832028
	v_mfma_scale_f32_16x16x128_f8f6f4 v[116:119], a[4:7], v[44:47], 0, v21, v31 op_sel_hi:[0,0,0] cbsz:4 blgp:4// 000000004B40: D3AC0800 00023F15 D3AD0C74 8A025904
	ds_read_b32 v80, v9 offset:32                              // 000000004B50: D86C0020 50000009
	ds_read_b32 v81, v9 offset:4384                            // 000000004B58: D86C1120 51000009
	ds_read_b32 v82, v9 offset:40                              // 000000004B60: D86C0028 52000009
	ds_read_b32 v83, v9 offset:4392                            // 000000004B68: D86C1128 53000009
	v_mfma_scale_f32_16x16x128_f8f6f4 v[120:123], a[4:7], v[52:55], 0, v21, v31 op_sel_hi:[0,0,0] cbsz:4 blgp:4// 000000004B70: D3AC7800 00023F15 D3AD0C78 8A026904
	buffer_load_dwordx4 a[36:39], v41, s[12:15], 0 offen       // 000000004B80: E05C1000 80832429
	buffer_load_dword v23, v10, s[16:19], 0 offen              // 000000004B88: E0501000 8004170A
	buffer_load_dword v24, v11, s[16:19], 0 offen              // 000000004B90: E0501000 8004180B
	s_waitcnt vmcnt(24)                                        // 000000004B98: BF8C4F78
	v_mfma_scale_f32_16x16x128_f8f6f4 v[124:127], a[8:11], v[44:47], 0, v22, v31 op_sel_hi:[0,0,0] cbsz:4 blgp:4// 000000004B9C: D3AC6000 00023F16 D3AD0C7C 8A025908
	ds_read_b32 v84, v9 offset:8704                            // 000000004BAC: D86C2200 54000009
	ds_read_b32 v85, v9 offset:13056                           // 000000004BB4: D86C3300 55000009
	ds_read_b32 v86, v9 offset:8712                            // 000000004BBC: D86C2208 56000009
	ds_read_b32 v87, v9 offset:13064                           // 000000004BC4: D86C3308 57000009
	v_mfma_scale_f32_16x16x128_f8f6f4 v[128:131], a[8:11], v[52:55], 0, v22, v31 op_sel_hi:[0,0,0] cbsz:4 blgp:4// 000000004BCC: D3AC7000 00023F16 D3AD0C80 8A026908
	buffer_load_dwordx4 a[40:43], v42, s[12:15], 0 offen       // 000000004BDC: E05C1000 8083282A
	v_mfma_scale_f32_16x16x128_f8f6f4 v[132:135], a[12:15], v[44:47], 0, v22, v31 op_sel_hi:[0,0,0] cbsz:4 blgp:4// 000000004BE4: D3AC6800 00023F16 D3AD0C84 8A02590C
	ds_read_b32 v88, v9 offset:8736                            // 000000004BF4: D86C2220 58000009
	ds_read_b32 v89, v9 offset:13088                           // 000000004BFC: D86C3320 59000009
	ds_read_b32 v90, v9 offset:8744                            // 000000004C04: D86C2228 5A000009
	ds_read_b32 v91, v9 offset:13096                           // 000000004C0C: D86C3328 5B000009
	v_mfma_scale_f32_16x16x128_f8f6f4 v[136:139], a[12:15], v[52:55], 0, v22, v31 op_sel_hi:[0,0,0] cbsz:4 blgp:4// 000000004C14: D3AC7800 00023F16 D3AD0C88 8A02690C
	buffer_load_dwordx4 a[44:47], v43, s[12:15], 0 offen       // 000000004C24: E05C1000 80832C2B
	s_waitcnt vmcnt(24)                                        // 000000004C2C: BF8C4F78
	v_mfma_scale_f32_16x16x128_f8f6f4 v[108:111], a[16:19], v[48:51], v[108:111], v21, v31 op_sel_hi:[0,0,0] cbsz:4 blgp:4// 000000004C30: D3AC6000 18023F15 D3AD0C6C 8DB26110
	ds_write_b64 v8, v[140:141] offset:17408                   // 000000004C40: D89A4400 00008C08
	ds_write_b64 v8, v[142:143] offset:26112                   // 000000004C48: D89A6600 00008E08
	v_mfma_scale_f32_16x16x128_f8f6f4 v[112:115], a[16:19], v[56:59], v[112:115], v21, v31 op_sel_hi:[0,0,0] cbsz:4 blgp:4// 000000004C50: D3AC7000 18023F15 D3AD0C70 8DC27110
	buffer_load_dwordx4 a[48:51], v40, s[12:15], 0 offen offset:1024// 000000004C60: E05C1400 80833028
	v_mfma_scale_f32_16x16x128_f8f6f4 v[116:119], a[20:23], v[48:51], v[116:119], v21, v31 op_sel_hi:[0,0,0] cbsz:4 blgp:4// 000000004C68: D3AC6800 18023F15 D3AD0C74 8DD26114
	ds_write_b64 v8, v[144:145] offset:17952                   // 000000004C78: D89A4620 00009008
	ds_write_b64 v8, v[146:147] offset:26656                   // 000000004C80: D89A6820 00009208
	v_mfma_scale_f32_16x16x128_f8f6f4 v[120:123], a[20:23], v[56:59], v[120:123], v21, v31 op_sel_hi:[0,0,0] cbsz:4 blgp:4// 000000004C88: D3AC7800 18023F15 D3AD0C78 8DE27114
	buffer_load_dwordx4 a[52:55], v41, s[12:15], 0 offen offset:1024// 000000004C98: E05C1400 80833429
	s_waitcnt vmcnt(24)                                        // 000000004CA0: BF8C4F78
	v_mfma_scale_f32_16x16x128_f8f6f4 v[124:127], a[24:27], v[48:51], v[124:127], v22, v31 op_sel_hi:[0,0,0] cbsz:4 blgp:4// 000000004CA4: D3AC6000 18023F16 D3AD0C7C 8DF26118
	ds_write_b64 v8, v[148:149] offset:21760                   // 000000004CB4: D89A5500 00009408
	ds_write_b64 v8, v[150:151] offset:30464                   // 000000004CBC: D89A7700 00009608
	v_mfma_scale_f32_16x16x128_f8f6f4 v[128:131], a[24:27], v[56:59], v[128:131], v22, v31 op_sel_hi:[0,0,0] cbsz:4 blgp:4// 000000004CC4: D3AC7000 18023F16 D3AD0C80 8E027118
	buffer_load_dwordx4 a[56:59], v42, s[12:15], 0 offen offset:1024// 000000004CD4: E05C1400 8083382A
	v_mfma_scale_f32_16x16x128_f8f6f4 v[132:135], a[28:31], v[48:51], v[132:135], v22, v31 op_sel_hi:[0,0,0] cbsz:4 blgp:4// 000000004CDC: D3AC6800 18023F16 D3AD0C84 8E12611C
	ds_write_b64 v8, v[152:153] offset:22304                   // 000000004CEC: D89A5720 00009808
	ds_write_b64 v8, v[154:155] offset:31008                   // 000000004CF4: D89A7920 00009A08
	v_mfma_scale_f32_16x16x128_f8f6f4 v[136:139], a[28:31], v[56:59], v[136:139], v22, v31 op_sel_hi:[0,0,0] cbsz:4 blgp:4// 000000004CFC: D3AC7800 18023F16 D3AD0C88 8E22711C
	buffer_load_dwordx4 a[60:63], v43, s[12:15], 0 offen offset:1024// 000000004D0C: E05C1400 80833C2B
	s_add_u32 s60, 0x200, s80                                  // 000000004D14: 803C50FF 00000200
	s_cmp_lt_u32 s60, s81                                      // 000000004D1C: BF0A513C
	s_cselect_b32 s56, s56, 0                                  // 000000004D20: 85388038
	s_cselect_b32 s78, s78, 0                                  // 000000004D24: 854E804E
	s_cselect_b32 s79, s79, 0                                  // 000000004D28: 854F804F
	s_add_u32 s12, s56, s12                                    // 000000004D2C: 800C0C38
	s_addc_u32 s13, 0, s13                                     // 000000004D30: 820D0D80
	s_add_u32 s16, s79, s16                                    // 000000004D34: 8010104F
	s_addc_u32 s17, 0, s17                                     // 000000004D38: 82111180
	v_mov_b32_e32 v2, v29                                      // 000000004D3C: 7E04031D
	v_mov_b32_e32 v3, v29                                      // 000000004D40: 7E06031D
	v_pk_mul_f32 v[108:109], v[2:3], v[108:109]                // 000000004D44: D3B1406C 1802D902
	v_pk_mul_f32 v[110:111], v[2:3], v[110:111]                // 000000004D4C: D3B1406E 1802DD02
	v_pk_mul_f32 v[116:117], v[2:3], v[116:117]                // 000000004D54: D3B14074 1802E902
	v_pk_mul_f32 v[118:119], v[2:3], v[118:119]                // 000000004D5C: D3B14076 1802ED02
	v_pk_mul_f32 v[124:125], v[2:3], v[124:125]                // 000000004D64: D3B1407C 1802F902
	v_pk_mul_f32 v[126:127], v[2:3], v[126:127]                // 000000004D6C: D3B1407E 1802FD02
	v_pk_mul_f32 v[132:133], v[2:3], v[132:133]                // 000000004D74: D3B14084 18030902
	v_pk_mul_f32 v[134:135], v[2:3], v[134:135]                // 000000004D7C: D3B14086 18030D02
	v_mov_b32_e32 v2, v30                                      // 000000004D84: 7E04031E
	v_mov_b32_e32 v3, v30                                      // 000000004D88: 7E06031E
	v_pk_mul_f32 v[112:113], v[2:3], v[112:113]                // 000000004D8C: D3B14070 1802E102
	v_pk_mul_f32 v[114:115], v[2:3], v[114:115]                // 000000004D94: D3B14072 1802E502
	v_pk_mul_f32 v[120:121], v[2:3], v[120:121]                // 000000004D9C: D3B14078 1802F102
	v_pk_mul_f32 v[122:123], v[2:3], v[122:123]                // 000000004DA4: D3B1407A 1802F502
	v_pk_mul_f32 v[128:129], v[2:3], v[128:129]                // 000000004DAC: D3B14080 18030102
	v_pk_mul_f32 v[130:131], v[2:3], v[130:131]                // 000000004DB4: D3B14082 18030502
	v_pk_mul_f32 v[136:137], v[2:3], v[136:137]                // 000000004DBC: D3B14088 18031102
	v_pk_mul_f32 v[138:139], v[2:3], v[138:139]                // 000000004DC4: D3B1408A 18031502
	v_cvt_pkrtz_f16_f32 v108, v108, v109                       // 000000004DCC: D296006C 0002DB6C
	v_cvt_pkrtz_f16_f32 v109, v110, v111                       // 000000004DD4: D296006D 0002DF6E
	v_cvt_pkrtz_f16_f32 v110, v112, v113                       // 000000004DDC: D296006E 0002E370
	v_cvt_pkrtz_f16_f32 v111, v114, v115                       // 000000004DE4: D296006F 0002E772
	v_cvt_pkrtz_f16_f32 v112, v116, v117                       // 000000004DEC: D2960070 0002EB74
	v_cvt_pkrtz_f16_f32 v113, v118, v119                       // 000000004DF4: D2960071 0002EF76
	v_cvt_pkrtz_f16_f32 v114, v120, v121                       // 000000004DFC: D2960072 0002F378
	v_cvt_pkrtz_f16_f32 v115, v122, v123                       // 000000004E04: D2960073 0002F77A
	v_cvt_pkrtz_f16_f32 v116, v124, v125                       // 000000004E0C: D2960074 0002FB7C
	v_cvt_pkrtz_f16_f32 v117, v126, v127                       // 000000004E14: D2960075 0002FF7E
	v_cvt_pkrtz_f16_f32 v118, v128, v129                       // 000000004E1C: D2960076 00030380
	v_cvt_pkrtz_f16_f32 v119, v130, v131                       // 000000004E24: D2960077 00030782
	v_cvt_pkrtz_f16_f32 v120, v132, v133                       // 000000004E2C: D2960078 00030B84
	v_cvt_pkrtz_f16_f32 v121, v134, v135                       // 000000004E34: D2960079 00030F86
	v_cvt_pkrtz_f16_f32 v122, v136, v137                       // 000000004E3C: D296007A 00031388
	v_cvt_pkrtz_f16_f32 v123, v138, v139                       // 000000004E44: D296007B 0003178A
	s_cmp_ge_u32 s80, 0x200                                    // 000000004E4C: BF09FF50 00000200
	s_cselect_b32 s59, 0x200, s59                              // 000000004E54: 853B3BFF 00000200
	s_mov_b64 exec, s[20:21]                                   // 000000004E5C: BEFE0114
	global_atomic_pk_add_f16 v92, v76, s[8:9]                  // 000000004E60: DD388000 00084C5C
	s_mov_b64 exec, s[36:37]                                   // 000000004E68: BEFE0124
	s_mov_b64 exec, s[20:21]                                   // 000000004E6C: BEFE0114
	global_atomic_pk_add_f16 v92, v77, s[8:9] offset:256       // 000000004E70: DD388100 00084D5C
	s_mov_b64 exec, s[36:37]                                   // 000000004E78: BEFE0124
	s_mov_b64 exec, s[22:23]                                   // 000000004E7C: BEFE0116
	global_atomic_pk_add_f16 v94, v78, s[8:9]                  // 000000004E80: DD388000 00084E5E
	s_mov_b64 exec, s[36:37]                                   // 000000004E88: BEFE0124
	s_mov_b64 exec, s[22:23]                                   // 000000004E8C: BEFE0116
	global_atomic_pk_add_f16 v94, v79, s[8:9] offset:256       // 000000004E90: DD388100 00084F5E
	s_mov_b64 exec, s[36:37]                                   // 000000004E98: BEFE0124
	s_mov_b64 exec, s[24:25]                                   // 000000004E9C: BEFE0118
	global_atomic_pk_add_f16 v96, v80, s[8:9]                  // 000000004EA0: DD388000 00085060
	s_mov_b64 exec, s[36:37]                                   // 000000004EA8: BEFE0124
	s_mov_b64 exec, s[24:25]                                   // 000000004EAC: BEFE0118
	global_atomic_pk_add_f16 v96, v81, s[8:9] offset:256       // 000000004EB0: DD388100 00085160
	s_mov_b64 exec, s[36:37]                                   // 000000004EB8: BEFE0124
	s_mov_b64 exec, s[26:27]                                   // 000000004EBC: BEFE011A
	global_atomic_pk_add_f16 v98, v82, s[8:9]                  // 000000004EC0: DD388000 00085262
	s_mov_b64 exec, s[36:37]                                   // 000000004EC8: BEFE0124
	s_mov_b64 exec, s[26:27]                                   // 000000004ECC: BEFE011A
	global_atomic_pk_add_f16 v98, v83, s[8:9] offset:256       // 000000004ED0: DD388100 00085362
	s_mov_b64 exec, s[36:37]                                   // 000000004ED8: BEFE0124
	s_mov_b64 exec, s[28:29]                                   // 000000004EDC: BEFE011C
	global_atomic_pk_add_f16 v100, v84, s[8:9]                 // 000000004EE0: DD388000 00085464
	s_mov_b64 exec, s[36:37]                                   // 000000004EE8: BEFE0124
	s_mov_b64 exec, s[28:29]                                   // 000000004EEC: BEFE011C
	global_atomic_pk_add_f16 v100, v85, s[8:9] offset:256      // 000000004EF0: DD388100 00085564
	s_mov_b64 exec, s[36:37]                                   // 000000004EF8: BEFE0124
	s_mov_b64 exec, s[30:31]                                   // 000000004EFC: BEFE011E
	global_atomic_pk_add_f16 v102, v86, s[8:9]                 // 000000004F00: DD388000 00085666
	s_mov_b64 exec, s[36:37]                                   // 000000004F08: BEFE0124
	s_mov_b64 exec, s[30:31]                                   // 000000004F0C: BEFE011E
	global_atomic_pk_add_f16 v102, v87, s[8:9] offset:256      // 000000004F10: DD388100 00085766
	s_mov_b64 exec, s[36:37]                                   // 000000004F18: BEFE0124
	s_mov_b64 exec, s[32:33]                                   // 000000004F1C: BEFE0120
	global_atomic_pk_add_f16 v104, v88, s[8:9]                 // 000000004F20: DD388000 00085868
	s_mov_b64 exec, s[36:37]                                   // 000000004F28: BEFE0124
	s_mov_b64 exec, s[32:33]                                   // 000000004F2C: BEFE0120
	global_atomic_pk_add_f16 v104, v89, s[8:9] offset:256      // 000000004F30: DD388100 00085968
	s_mov_b64 exec, s[36:37]                                   // 000000004F38: BEFE0124
	s_mov_b64 exec, s[34:35]                                   // 000000004F3C: BEFE0122
	global_atomic_pk_add_f16 v106, v90, s[8:9]                 // 000000004F40: DD388000 00085A6A
	s_mov_b64 exec, s[36:37]                                   // 000000004F48: BEFE0124
	s_mov_b64 exec, s[34:35]                                   // 000000004F4C: BEFE0122
	global_atomic_pk_add_f16 v106, v91, s[8:9] offset:256      // 000000004F50: DD388100 00085B6A
	s_mov_b64 exec, s[36:37]                                   // 000000004F58: BEFE0124
	s_add_u32 s8, s59, s8                                      // 000000004F5C: 8008083B
	s_addc_u32 s9, 0, s9                                       // 000000004F60: 82090980
	s_addk_i32 s80, 0x100                                      // 000000004F64: B7500100
	s_cmp_lt_i32 s80, s81                                      // 000000004F68: BF045150
	s_cbranch_scc0 label_097D                                  // 000000004F6C: BF840121
	s_waitcnt vmcnt(22) lgkmcnt(0)                             // 000000004F70: BF8C4076
	s_barrier                                                  // 000000004F74: BF8A0000
	v_mfma_scale_f32_16x16x128_f8f6f4 v[140:143], a[32:35], v[44:47], 0, v23, v31 op_sel_hi:[0,0,0] cbsz:4 blgp:4// 000000004F78: D3AC6000 00023F17 D3AD0C8C 8A025920
	ds_read_b32 v76, v9 offset:17408                           // 000000004F88: D86C4400 4C000009
	ds_read_b32 v77, v9 offset:21760                           // 000000004F90: D86C5500 4D000009
	ds_read_b32 v78, v9 offset:17416                           // 000000004F98: D86C4408 4E000009
	ds_read_b32 v79, v9 offset:21768                           // 000000004FA0: D86C5508 4F000009
	v_mfma_scale_f32_16x16x128_f8f6f4 v[144:147], a[32:35], v[52:55], 0, v23, v31 op_sel_hi:[0,0,0] cbsz:4 blgp:4// 000000004FA8: D3AC7000 00023F17 D3AD0C90 8A026920
	buffer_load_dwordx4 a[0:3], v40, s[12:15], 0 offen         // 000000004FB8: E05C1000 80830028
	v_mfma_scale_f32_16x16x128_f8f6f4 v[148:151], a[36:39], v[44:47], 0, v23, v31 op_sel_hi:[0,0,0] cbsz:4 blgp:4// 000000004FC0: D3AC6800 00023F17 D3AD0C94 8A025924
	ds_read_b32 v80, v9 offset:17440                           // 000000004FD0: D86C4420 50000009
	ds_read_b32 v81, v9 offset:21792                           // 000000004FD8: D86C5520 51000009
	ds_read_b32 v82, v9 offset:17448                           // 000000004FE0: D86C4428 52000009
	ds_read_b32 v83, v9 offset:21800                           // 000000004FE8: D86C5528 53000009
	v_mfma_scale_f32_16x16x128_f8f6f4 v[152:155], a[36:39], v[52:55], 0, v23, v31 op_sel_hi:[0,0,0] cbsz:4 blgp:4// 000000004FF0: D3AC7800 00023F17 D3AD0C98 8A026924
	buffer_load_dwordx4 a[4:7], v41, s[12:15], 0 offen         // 000000005000: E05C1000 80830429
	buffer_load_dword v21, v10, s[16:19], 0 offen              // 000000005008: E0501000 8004150A
	buffer_load_dword v22, v11, s[16:19], 0 offen              // 000000005010: E0501000 8004160B
	s_waitcnt vmcnt(24)                                        // 000000005018: BF8C4F78
	v_mfma_scale_f32_16x16x128_f8f6f4 v[156:159], a[40:43], v[44:47], 0, v24, v31 op_sel_hi:[0,0,0] cbsz:4 blgp:4// 00000000501C: D3AC6000 00023F18 D3AD0C9C 8A025928
	ds_read_b32 v84, v9 offset:26112                           // 00000000502C: D86C6600 54000009
	ds_read_b32 v85, v9 offset:30464                           // 000000005034: D86C7700 55000009
	ds_read_b32 v86, v9 offset:26120                           // 00000000503C: D86C6608 56000009
	ds_read_b32 v87, v9 offset:30472                           // 000000005044: D86C7708 57000009
	v_mfma_scale_f32_16x16x128_f8f6f4 v[160:163], a[40:43], v[52:55], 0, v24, v31 op_sel_hi:[0,0,0] cbsz:4 blgp:4// 00000000504C: D3AC7000 00023F18 D3AD0CA0 8A026928
	buffer_load_dwordx4 a[8:11], v42, s[12:15], 0 offen        // 00000000505C: E05C1000 8083082A
	v_mfma_scale_f32_16x16x128_f8f6f4 v[164:167], a[44:47], v[44:47], 0, v24, v31 op_sel_hi:[0,0,0] cbsz:4 blgp:4// 000000005064: D3AC6800 00023F18 D3AD0CA4 8A02592C
	ds_read_b32 v88, v9 offset:26144                           // 000000005074: D86C6620 58000009
	ds_read_b32 v89, v9 offset:30496                           // 00000000507C: D86C7720 59000009
	ds_read_b32 v90, v9 offset:26152                           // 000000005084: D86C6628 5A000009
	ds_read_b32 v91, v9 offset:30504                           // 00000000508C: D86C7728 5B000009
	v_mfma_scale_f32_16x16x128_f8f6f4 v[168:171], a[44:47], v[52:55], 0, v24, v31 op_sel_hi:[0,0,0] cbsz:4 blgp:4// 000000005094: D3AC7800 00023F18 D3AD0CA8 8A02692C
	buffer_load_dwordx4 a[12:15], v43, s[12:15], 0 offen       // 0000000050A4: E05C1000 80830C2B
	s_waitcnt vmcnt(24)                                        // 0000000050AC: BF8C4F78
	v_mfma_scale_f32_16x16x128_f8f6f4 v[140:143], a[48:51], v[48:51], v[140:143], v23, v31 op_sel_hi:[0,0,0] cbsz:4 blgp:4// 0000000050B0: D3AC6000 18023F17 D3AD0C8C 8E326130
	ds_write_b64 v8, v[108:109]                                // 0000000050C0: D89A0000 00006C08
	ds_write_b64 v8, v[110:111] offset:8704                    // 0000000050C8: D89A2200 00006E08
	v_mfma_scale_f32_16x16x128_f8f6f4 v[144:147], a[48:51], v[56:59], v[144:147], v23, v31 op_sel_hi:[0,0,0] cbsz:4 blgp:4// 0000000050D0: D3AC7000 18023F17 D3AD0C90 8E427130
	buffer_load_dwordx4 a[16:19], v40, s[12:15], 0 offen offset:1024// 0000000050E0: E05C1400 80831028
	v_mfma_scale_f32_16x16x128_f8f6f4 v[148:151], a[52:55], v[48:51], v[148:151], v23, v31 op_sel_hi:[0,0,0] cbsz:4 blgp:4// 0000000050E8: D3AC6800 18023F17 D3AD0C94 8E526134
	ds_write_b64 v8, v[112:113] offset:544                     // 0000000050F8: D89A0220 00007008
	ds_write_b64 v8, v[114:115] offset:9248                    // 000000005100: D89A2420 00007208
	v_mfma_scale_f32_16x16x128_f8f6f4 v[152:155], a[52:55], v[56:59], v[152:155], v23, v31 op_sel_hi:[0,0,0] cbsz:4 blgp:4// 000000005108: D3AC7800 18023F17 D3AD0C98 8E627134
	buffer_load_dwordx4 a[20:23], v41, s[12:15], 0 offen offset:1024// 000000005118: E05C1400 80831429
	s_waitcnt vmcnt(24)                                        // 000000005120: BF8C4F78
	v_mfma_scale_f32_16x16x128_f8f6f4 v[156:159], a[56:59], v[48:51], v[156:159], v24, v31 op_sel_hi:[0,0,0] cbsz:4 blgp:4// 000000005124: D3AC6000 18023F18 D3AD0C9C 8E726138
	ds_write_b64 v8, v[116:117] offset:4352                    // 000000005134: D89A1100 00007408
	ds_write_b64 v8, v[118:119] offset:13056                   // 00000000513C: D89A3300 00007608
	v_mfma_scale_f32_16x16x128_f8f6f4 v[160:163], a[56:59], v[56:59], v[160:163], v24, v31 op_sel_hi:[0,0,0] cbsz:4 blgp:4// 000000005144: D3AC7000 18023F18 D3AD0CA0 8E827138
	buffer_load_dwordx4 a[24:27], v42, s[12:15], 0 offen offset:1024// 000000005154: E05C1400 8083182A
	v_mfma_scale_f32_16x16x128_f8f6f4 v[164:167], a[60:63], v[48:51], v[164:167], v24, v31 op_sel_hi:[0,0,0] cbsz:4 blgp:4// 00000000515C: D3AC6800 18023F18 D3AD0CA4 8E92613C
	ds_write_b64 v8, v[120:121] offset:4896                    // 00000000516C: D89A1320 00007808
	ds_write_b64 v8, v[122:123] offset:13600                   // 000000005174: D89A3520 00007A08
	v_mfma_scale_f32_16x16x128_f8f6f4 v[168:171], a[60:63], v[56:59], v[168:171], v24, v31 op_sel_hi:[0,0,0] cbsz:4 blgp:4// 00000000517C: D3AC7800 18023F18 D3AD0CA8 8EA2713C
	buffer_load_dwordx4 a[28:31], v43, s[12:15], 0 offen offset:1024// 00000000518C: E05C1400 80831C2B
	s_add_u32 s60, 0x200, s80                                  // 000000005194: 803C50FF 00000200
	s_cmp_lt_u32 s60, s81                                      // 00000000519C: BF0A513C
	s_cselect_b32 s56, s56, 0                                  // 0000000051A0: 85388038
	s_cselect_b32 s78, s78, 0                                  // 0000000051A4: 854E804E
	s_cselect_b32 s79, s79, 0                                  // 0000000051A8: 854F804F
	s_add_u32 s12, s56, s12                                    // 0000000051AC: 800C0C38
	s_addc_u32 s13, 0, s13                                     // 0000000051B0: 820D0D80
	s_add_u32 s16, s79, s16                                    // 0000000051B4: 8010104F
	s_addc_u32 s17, 0, s17                                     // 0000000051B8: 82111180
	v_mov_b32_e32 v2, v29                                      // 0000000051BC: 7E04031D
	v_mov_b32_e32 v3, v29                                      // 0000000051C0: 7E06031D
	v_pk_mul_f32 v[140:141], v[2:3], v[140:141]                // 0000000051C4: D3B1408C 18031902
	v_pk_mul_f32 v[142:143], v[2:3], v[142:143]                // 0000000051CC: D3B1408E 18031D02
	v_pk_mul_f32 v[148:149], v[2:3], v[148:149]                // 0000000051D4: D3B14094 18032902
	v_pk_mul_f32 v[150:151], v[2:3], v[150:151]                // 0000000051DC: D3B14096 18032D02
	v_pk_mul_f32 v[156:157], v[2:3], v[156:157]                // 0000000051E4: D3B1409C 18033902
	v_pk_mul_f32 v[158:159], v[2:3], v[158:159]                // 0000000051EC: D3B1409E 18033D02
	v_pk_mul_f32 v[164:165], v[2:3], v[164:165]                // 0000000051F4: D3B140A4 18034902
	v_pk_mul_f32 v[166:167], v[2:3], v[166:167]                // 0000000051FC: D3B140A6 18034D02
	v_mov_b32_e32 v2, v30                                      // 000000005204: 7E04031E
	v_mov_b32_e32 v3, v30                                      // 000000005208: 7E06031E
	v_pk_mul_f32 v[144:145], v[2:3], v[144:145]                // 00000000520C: D3B14090 18032102
	v_pk_mul_f32 v[146:147], v[2:3], v[146:147]                // 000000005214: D3B14092 18032502
	v_pk_mul_f32 v[152:153], v[2:3], v[152:153]                // 00000000521C: D3B14098 18033102
	v_pk_mul_f32 v[154:155], v[2:3], v[154:155]                // 000000005224: D3B1409A 18033502
	v_pk_mul_f32 v[160:161], v[2:3], v[160:161]                // 00000000522C: D3B140A0 18034102
	v_pk_mul_f32 v[162:163], v[2:3], v[162:163]                // 000000005234: D3B140A2 18034502
	v_pk_mul_f32 v[168:169], v[2:3], v[168:169]                // 00000000523C: D3B140A8 18035102
	v_pk_mul_f32 v[170:171], v[2:3], v[170:171]                // 000000005244: D3B140AA 18035502
	v_cvt_pkrtz_f16_f32 v140, v140, v141                       // 00000000524C: D296008C 00031B8C
	v_cvt_pkrtz_f16_f32 v141, v142, v143                       // 000000005254: D296008D 00031F8E
	v_cvt_pkrtz_f16_f32 v142, v144, v145                       // 00000000525C: D296008E 00032390
	v_cvt_pkrtz_f16_f32 v143, v146, v147                       // 000000005264: D296008F 00032792
	v_cvt_pkrtz_f16_f32 v144, v148, v149                       // 00000000526C: D2960090 00032B94
	v_cvt_pkrtz_f16_f32 v145, v150, v151                       // 000000005274: D2960091 00032F96
	v_cvt_pkrtz_f16_f32 v146, v152, v153                       // 00000000527C: D2960092 00033398
	v_cvt_pkrtz_f16_f32 v147, v154, v155                       // 000000005284: D2960093 0003379A
	v_cvt_pkrtz_f16_f32 v148, v156, v157                       // 00000000528C: D2960094 00033B9C
	v_cvt_pkrtz_f16_f32 v149, v158, v159                       // 000000005294: D2960095 00033F9E
	v_cvt_pkrtz_f16_f32 v150, v160, v161                       // 00000000529C: D2960096 000343A0
	v_cvt_pkrtz_f16_f32 v151, v162, v163                       // 0000000052A4: D2960097 000347A2
	v_cvt_pkrtz_f16_f32 v152, v164, v165                       // 0000000052AC: D2960098 00034BA4
	v_cvt_pkrtz_f16_f32 v153, v166, v167                       // 0000000052B4: D2960099 00034FA6
	v_cvt_pkrtz_f16_f32 v154, v168, v169                       // 0000000052BC: D296009A 000353A8
	v_cvt_pkrtz_f16_f32 v155, v170, v171                       // 0000000052C4: D296009B 000357AA
	s_cmp_ge_u32 s80, 0x200                                    // 0000000052CC: BF09FF50 00000200
	s_cselect_b32 s59, 0x200, s59                              // 0000000052D4: 853B3BFF 00000200
	s_mov_b64 exec, s[20:21]                                   // 0000000052DC: BEFE0114
	global_atomic_pk_add_f16 v92, v76, s[8:9]                  // 0000000052E0: DD388000 00084C5C
	s_mov_b64 exec, s[36:37]                                   // 0000000052E8: BEFE0124
	s_mov_b64 exec, s[20:21]                                   // 0000000052EC: BEFE0114
	global_atomic_pk_add_f16 v92, v77, s[8:9] offset:256       // 0000000052F0: DD388100 00084D5C
	s_mov_b64 exec, s[36:37]                                   // 0000000052F8: BEFE0124
	s_mov_b64 exec, s[22:23]                                   // 0000000052FC: BEFE0116
	global_atomic_pk_add_f16 v94, v78, s[8:9]                  // 000000005300: DD388000 00084E5E
	s_mov_b64 exec, s[36:37]                                   // 000000005308: BEFE0124
	s_mov_b64 exec, s[22:23]                                   // 00000000530C: BEFE0116
	global_atomic_pk_add_f16 v94, v79, s[8:9] offset:256       // 000000005310: DD388100 00084F5E
	s_mov_b64 exec, s[36:37]                                   // 000000005318: BEFE0124
	s_mov_b64 exec, s[24:25]                                   // 00000000531C: BEFE0118
	global_atomic_pk_add_f16 v96, v80, s[8:9]                  // 000000005320: DD388000 00085060
	s_mov_b64 exec, s[36:37]                                   // 000000005328: BEFE0124
	s_mov_b64 exec, s[24:25]                                   // 00000000532C: BEFE0118
	global_atomic_pk_add_f16 v96, v81, s[8:9] offset:256       // 000000005330: DD388100 00085160
	s_mov_b64 exec, s[36:37]                                   // 000000005338: BEFE0124
	s_mov_b64 exec, s[26:27]                                   // 00000000533C: BEFE011A
	global_atomic_pk_add_f16 v98, v82, s[8:9]                  // 000000005340: DD388000 00085262
	s_mov_b64 exec, s[36:37]                                   // 000000005348: BEFE0124
	s_mov_b64 exec, s[26:27]                                   // 00000000534C: BEFE011A
	global_atomic_pk_add_f16 v98, v83, s[8:9] offset:256       // 000000005350: DD388100 00085362
	s_mov_b64 exec, s[36:37]                                   // 000000005358: BEFE0124
	s_mov_b64 exec, s[28:29]                                   // 00000000535C: BEFE011C
	global_atomic_pk_add_f16 v100, v84, s[8:9]                 // 000000005360: DD388000 00085464
	s_mov_b64 exec, s[36:37]                                   // 000000005368: BEFE0124
	s_mov_b64 exec, s[28:29]                                   // 00000000536C: BEFE011C
	global_atomic_pk_add_f16 v100, v85, s[8:9] offset:256      // 000000005370: DD388100 00085564
	s_mov_b64 exec, s[36:37]                                   // 000000005378: BEFE0124
	s_mov_b64 exec, s[30:31]                                   // 00000000537C: BEFE011E
	global_atomic_pk_add_f16 v102, v86, s[8:9]                 // 000000005380: DD388000 00085666
	s_mov_b64 exec, s[36:37]                                   // 000000005388: BEFE0124
	s_mov_b64 exec, s[30:31]                                   // 00000000538C: BEFE011E
	global_atomic_pk_add_f16 v102, v87, s[8:9] offset:256      // 000000005390: DD388100 00085766
	s_mov_b64 exec, s[36:37]                                   // 000000005398: BEFE0124
	s_mov_b64 exec, s[32:33]                                   // 00000000539C: BEFE0120
	global_atomic_pk_add_f16 v104, v88, s[8:9]                 // 0000000053A0: DD388000 00085868
	s_mov_b64 exec, s[36:37]                                   // 0000000053A8: BEFE0124
	s_mov_b64 exec, s[32:33]                                   // 0000000053AC: BEFE0120
	global_atomic_pk_add_f16 v104, v89, s[8:9] offset:256      // 0000000053B0: DD388100 00085968
	s_mov_b64 exec, s[36:37]                                   // 0000000053B8: BEFE0124
	s_mov_b64 exec, s[34:35]                                   // 0000000053BC: BEFE0122
	global_atomic_pk_add_f16 v106, v90, s[8:9]                 // 0000000053C0: DD388000 00085A6A
	s_mov_b64 exec, s[36:37]                                   // 0000000053C8: BEFE0124
	s_mov_b64 exec, s[34:35]                                   // 0000000053CC: BEFE0122
	global_atomic_pk_add_f16 v106, v91, s[8:9] offset:256      // 0000000053D0: DD388100 00085B6A
	s_mov_b64 exec, s[36:37]                                   // 0000000053D8: BEFE0124
	s_add_u32 s8, s59, s8                                      // 0000000053DC: 8008083B
	s_addc_u32 s9, 0, s9                                       // 0000000053E0: 82090980
	s_addk_i32 s80, 0x100                                      // 0000000053E4: B7500100
	s_cmp_lt_i32 s80, s81                                      // 0000000053E8: BF045150
	s_cbranch_scc0 label_097D                                  // 0000000053EC: BF840001
	s_branch label_073C                                        // 0000000053F0: BF82FDBF

00000000000053f4 <label_097D>:
	s_nop 0                                                    // 0000000053F4: BF800000
	s_nop 0                                                    // 0000000053F8: BF800000
	s_branch label_107A                                        // 0000000053FC: BF8206FA

0000000000005400 <label_0980>:
	s_waitcnt vmcnt(6) lgkmcnt(0)                              // 000000005400: BF8C0076
	s_barrier                                                  // 000000005404: BF8A0000
	v_mfma_scale_f32_16x16x128_f8f6f4 v[44:47], a[0:3], v[108:111], v[44:47], v21, v19 op_sel_hi:[0,0,0] cbsz:4 blgp:4// 000000005408: D3AC6000 00022715 D3AD0C2C 8CB2D900
	buffer_load_dwordx4 a[32:35], v36, s[92:95], 0 offen       // 000000005418: E05C1000 80972024
	buffer_load_dwordx4 v35, s[20:23], 0 offen lds             // 000000005420: E05D1000 80050023
	s_add_u32 m0, 0, s50                                       // 000000005428: 807C3280
	v_mfma_scale_f32_16x16x128_f8f6f4 v[60:63], a[0:3], v[116:119], v[60:63], v21, v19 op_sel_hi:[0,0,0] cbsz:4 blgp:4// 00000000542C: D3AC7000 00022715 D3AD0C3C 8CF2E900
	v_mfma_scale_f32_16x16x128_f8f6f4 v[48:51], a[4:7], v[108:111], v[48:51], v21, v19 op_sel_hi:[0,0,0] cbsz:4 blgp:4// 00000000543C: D3AC0800 00022715 D3AD0C30 8CC2D904
	buffer_load_dwordx4 a[36:39], v37, s[92:95], 0 offen       // 00000000544C: E05C1000 80972425
	buffer_load_dword v20, v12, s[28:31], 0 offen              // 000000005454: E0501000 8007140C
	buffer_load_dword v25, v17, s[32:35], 0 offen              // 00000000545C: E0501000 80081911
	buffer_load_dword v26, v18, s[32:35], 0 offen              // 000000005464: E0501000 80081A12
	v_mfma_scale_f32_16x16x128_f8f6f4 v[64:67], a[4:7], v[116:119], v[64:67], v21, v19 op_sel_hi:[0,0,0] cbsz:4 blgp:4// 00000000546C: D3AC1800 00022715 D3AD0C40 8D02E904
	s_waitcnt vmcnt(10)                                        // 00000000547C: BF8C0F7A
	v_mfma_scale_f32_16x16x128_f8f6f4 v[52:55], a[8:11], v[108:111], v[52:55], v22, v19 op_sel_hi:[0,0,0] cbsz:4 blgp:4// 000000005480: D3AC0000 00022716 D3AD0C34 8CD2D908
	buffer_load_dwordx4 a[40:43], v38, s[92:95], 0 offen       // 000000005490: E05C1000 80972826
	v_mfma_scale_f32_16x16x128_f8f6f4 v[68:71], a[8:11], v[116:119], v[68:71], v22, v19 op_sel_hi:[0,0,0] cbsz:4 blgp:4// 000000005498: D3AC7000 00022716 D3AD0C44 8D12E908
	v_mfma_scale_f32_16x16x128_f8f6f4 v[56:59], a[12:15], v[108:111], v[56:59], v22, v19 op_sel_hi:[0,0,0] cbsz:4 blgp:4// 0000000054A8: D3AC0800 00022716 D3AD0C38 8CE2D90C
	buffer_load_dwordx4 a[44:47], v39, s[92:95], 0 offen       // 0000000054B8: E05C1000 80972C27
	v_mfma_scale_f32_16x16x128_f8f6f4 v[72:75], a[12:15], v[116:119], v[72:75], v22, v19 op_sel_hi:[0,0,0] cbsz:4 blgp:4// 0000000054C0: D3AC7800 00022716 D3AD0C48 8D22E90C
	s_nop 0                                                    // 0000000054D0: BF800000
	s_waitcnt vmcnt(10)                                        // 0000000054D4: BF8C0F7A
	v_mfma_scale_f32_16x16x128_f8f6f4 v[44:47], a[16:19], v[112:115], v[44:47], v21, v19 op_sel_hi:[0,0,0] cbsz:4 blgp:4// 0000000054D8: D3AC6000 18022715 D3AD0C2C 8CB2E110
	buffer_load_dwordx4 a[48:51], v36, s[92:95], 0 offen offset:1024// 0000000054E8: E05C1400 80973024
	v_mfma_scale_f32_16x16x128_f8f6f4 v[60:63], a[16:19], v[120:123], v[60:63], v21, v19 op_sel_hi:[0,0,0] cbsz:4 blgp:4// 0000000054F0: D3AC7000 18022715 D3AD0C3C 8CF2F110
	v_mfma_scale_f32_16x16x128_f8f6f4 v[48:51], a[20:23], v[112:115], v[48:51], v21, v19 op_sel_hi:[0,0,0] cbsz:4 blgp:4// 000000005500: D3AC6800 18022715 D3AD0C30 8CC2E114
	buffer_load_dwordx4 a[52:55], v37, s[92:95], 0 offen offset:1024// 000000005510: E05C1400 80973425
	v_mfma_scale_f32_16x16x128_f8f6f4 v[64:67], a[20:23], v[120:123], v[64:67], v21, v19 op_sel_hi:[0,0,0] cbsz:4 blgp:4// 000000005518: D3AC7800 18022715 D3AD0C40 8D02F114
	s_waitcnt vmcnt(10)                                        // 000000005528: BF8C0F7A
	v_mfma_scale_f32_16x16x128_f8f6f4 v[52:55], a[24:27], v[112:115], v[52:55], v22, v19 op_sel_hi:[0,0,0] cbsz:4 blgp:4// 00000000552C: D3AC6000 18022716 D3AD0C34 8CD2E118
	buffer_load_dwordx4 a[56:59], v38, s[92:95], 0 offen offset:1024// 00000000553C: E05C1400 80973826
	v_mfma_scale_f32_16x16x128_f8f6f4 v[68:71], a[24:27], v[120:123], v[68:71], v22, v19 op_sel_hi:[0,0,0] cbsz:4 blgp:4// 000000005544: D3AC7000 18022716 D3AD0C44 8D12F118
	v_mfma_scale_f32_16x16x128_f8f6f4 v[56:59], a[28:31], v[112:115], v[56:59], v22, v19 op_sel_hi:[0,0,0] cbsz:4 blgp:4// 000000005554: D3AC6800 18022716 D3AD0C38 8CE2E11C
	buffer_load_dwordx4 a[60:63], v39, s[92:95], 0 offen offset:1024// 000000005564: E05C1400 80973C27
	v_mfma_scale_f32_16x16x128_f8f6f4 v[72:75], a[28:31], v[120:123], v[72:75], v22, v19 op_sel_hi:[0,0,0] cbsz:4 blgp:4// 00000000556C: D3AC7800 18022716 D3AD0C48 8D22F11C
	s_add_u32 s60, 0x100, s80                                  // 00000000557C: 803C50FF 00000100
	s_cmp_lt_u32 s60, s81                                      // 000000005584: BF0A513C
	s_cselect_b32 s4, s4, 0                                    // 000000005588: 85048004
	s_add_u32 s32, s4, s32                                     // 00000000558C: 80202004
	s_addc_u32 s33, 0, s33                                     // 000000005590: 82212180
	s_waitcnt vmcnt(6)                                         // 000000005594: BF8C0F76
	s_barrier                                                  // 000000005598: BF8A0000
	v_mfma_scale_f32_16x16x128_f8f6f4 v[76:79], a[32:35], v[108:111], v[76:79], v25, v19 op_sel_hi:[0,0,0] cbsz:4 blgp:4// 00000000559C: D3AC6000 00022719 D3AD0C4C 8D32D920
	buffer_load_dwordx4 a[0:3], v36, s[24:27], 0 offen         // 0000000055AC: E05C1000 80860024
	buffer_load_dword v23, v15, s[32:35], 0 offen              // 0000000055B4: E0501000 8008170F
	buffer_load_dword v24, v16, s[32:35], 0 offen              // 0000000055BC: E0501000 80081810
	v_mfma_scale_f32_16x16x128_f8f6f4 v[92:95], a[32:35], v[116:119], v[92:95], v25, v19 op_sel_hi:[0,0,0] cbsz:4 blgp:4// 0000000055C4: D3AC7000 00022719 D3AD0C5C 8D72E920
	v_mfma_scale_f32_16x16x128_f8f6f4 v[80:83], a[36:39], v[108:111], v[80:83], v25, v19 op_sel_hi:[0,0,0] cbsz:4 blgp:4// 0000000055D4: D3AC6800 00022719 D3AD0C50 8D42D924
	buffer_load_dwordx4 a[4:7], v37, s[24:27], 0 offen         // 0000000055E4: E05C1000 80860425
	v_mfma_scale_f32_16x16x128_f8f6f4 v[96:99], a[36:39], v[116:119], v[96:99], v25, v19 op_sel_hi:[0,0,0] cbsz:4 blgp:4// 0000000055EC: D3AC7800 00022719 D3AD0C60 8D82E924
	s_waitcnt vmcnt(8)                                         // 0000000055FC: BF8C0F78
	v_mfma_scale_f32_16x16x128_f8f6f4 v[84:87], a[40:43], v[108:111], v[84:87], v26, v19 op_sel_hi:[0,0,0] cbsz:4 blgp:4// 000000005600: D3AC6000 0002271A D3AD0C54 8D52D928
	buffer_load_dwordx4 a[8:11], v38, s[24:27], 0 offen        // 000000005610: E05C1000 80860826
	v_mfma_scale_f32_16x16x128_f8f6f4 v[100:103], a[40:43], v[116:119], v[100:103], v26, v19 op_sel_hi:[0,0,0] cbsz:4 blgp:4// 000000005618: D3AC7000 0002271A D3AD0C64 8D92E928
	v_mfma_scale_f32_16x16x128_f8f6f4 v[88:91], a[44:47], v[108:111], v[88:91], v26, v19 op_sel_hi:[0,0,0] cbsz:4 blgp:4// 000000005628: D3AC6800 0002271A D3AD0C58 8D62D92C
	buffer_load_dwordx4 a[12:15], v39, s[24:27], 0 offen       // 000000005638: E05C1000 80860C27
	v_mfma_scale_f32_16x16x128_f8f6f4 v[104:107], a[44:47], v[116:119], v[104:107], v26, v19 op_sel_hi:[0,0,0] cbsz:4 blgp:4// 000000005640: D3AC7800 0002271A D3AD0C68 8DA2E92C
	s_waitcnt vmcnt(8)                                         // 000000005650: BF8C0F78
	v_mfma_scale_f32_16x16x128_f8f6f4 v[76:79], a[48:51], v[112:115], v[76:79], v25, v19 op_sel_hi:[0,0,0] cbsz:4 blgp:4// 000000005654: D3AC6000 18022719 D3AD0C4C 8D32E130
	buffer_load_dwordx4 a[16:19], v36, s[24:27], 0 offen offset:1024// 000000005664: E05C1400 80861024
	v_mfma_scale_f32_16x16x128_f8f6f4 v[92:95], a[48:51], v[120:123], v[92:95], v25, v19 op_sel_hi:[0,0,0] cbsz:4 blgp:4// 00000000566C: D3AC7000 18022719 D3AD0C5C 8D72F130
	ds_read_b128 v[124:127], v6 offset:4224                    // 00000000567C: D9FE1080 7C000006
	ds_read_b128 v[128:131], v6 offset:4288                    // 000000005684: D9FE10C0 80000006
	v_mfma_scale_f32_16x16x128_f8f6f4 v[80:83], a[52:55], v[112:115], v[80:83], v25, v19 op_sel_hi:[0,0,0] cbsz:4 blgp:4// 00000000568C: D3AC6800 18022719 D3AD0C50 8D42E134
	buffer_load_dwordx4 a[20:23], v37, s[24:27], 0 offen offset:1024// 00000000569C: E05C1400 80861425
	v_mfma_scale_f32_16x16x128_f8f6f4 v[96:99], a[52:55], v[120:123], v[96:99], v25, v19 op_sel_hi:[0,0,0] cbsz:4 blgp:4// 0000000056A4: D3AC7800 18022719 D3AD0C60 8D82F134
	ds_read_b128 v[132:135], v6 offset:4736                    // 0000000056B4: D9FE1280 84000006
	ds_read_b128 v[136:139], v6 offset:4800                    // 0000000056BC: D9FE12C0 88000006
	s_waitcnt vmcnt(8)                                         // 0000000056C4: BF8C0F78
	v_mfma_scale_f32_16x16x128_f8f6f4 v[84:87], a[56:59], v[112:115], v[84:87], v26, v19 op_sel_hi:[0,0,0] cbsz:4 blgp:4// 0000000056C8: D3AC6000 1802271A D3AD0C54 8D52E138
	buffer_load_dwordx4 a[24:27], v38, s[24:27], 0 offen offset:1024// 0000000056D8: E05C1400 80861826
	v_mfma_scale_f32_16x16x128_f8f6f4 v[100:103], a[56:59], v[120:123], v[100:103], v26, v19 op_sel_hi:[0,0,0] cbsz:4 blgp:4// 0000000056E0: D3AC7000 1802271A D3AD0C64 8D92F138
	v_mfma_scale_f32_16x16x128_f8f6f4 v[88:91], a[60:63], v[112:115], v[88:91], v26, v19 op_sel_hi:[0,0,0] cbsz:4 blgp:4// 0000000056F0: D3AC6800 1802271A D3AD0C58 8D62E13C
	buffer_load_dwordx4 a[28:31], v39, s[24:27], 0 offen offset:1024// 000000005700: E05C1400 80861C27
	v_mfma_scale_f32_16x16x128_f8f6f4 v[104:107], a[60:63], v[120:123], v[104:107], v26, v19 op_sel_hi:[0,0,0] cbsz:4 blgp:4// 000000005708: D3AC7800 1802271A D3AD0C68 8DA2F13C
	s_add_u32 s60, 0x200, s80                                  // 000000005718: 803C50FF 00000200
	s_cmp_lt_u32 s60, s81                                      // 000000005720: BF0A513C
	s_cselect_b32 s57, s57, 0                                  // 000000005724: 85398039
	s_cselect_b32 s3, s3, 0                                    // 000000005728: 85038003
	s_add_u32 s60, 0x200, s80                                  // 00000000572C: 803C50FF 00000200
	s_cmp_lt_u32 s60, s81                                      // 000000005734: BF0A513C
	s_cselect_b32 s58, s58, 0                                  // 000000005738: 853A803A
	s_add_u32 s20, s57, s20                                    // 00000000573C: 80141439
	s_addc_u32 s21, 0, s21                                     // 000000005740: 82151580
	s_add_u32 s28, s3, s28                                     // 000000005744: 801C1C03
	s_addc_u32 s29, 0, s29                                     // 000000005748: 821D1D80
	s_add_u32 s24, s58, s24                                    // 00000000574C: 8018183A
	s_addc_u32 s25, 0, s25                                     // 000000005750: 82191980
	s_add_u32 s92, s90, s92                                    // 000000005754: 805C5C5A
	s_addc_u32 s93, 0, s93                                     // 000000005758: 825D5D80
	s_addk_i32 s80, 0x100                                      // 00000000575C: B7500100
	s_cmp_lt_i32 s80, s81                                      // 000000005760: BF045150
	s_cbranch_scc0 label_0B35                                  // 000000005764: BF8400DB
	s_waitcnt vmcnt(6) lgkmcnt(0)                              // 000000005768: BF8C0076
	s_barrier                                                  // 00000000576C: BF8A0000
	v_mfma_scale_f32_16x16x128_f8f6f4 v[44:47], a[0:3], v[124:127], v[44:47], v23, v20 op_sel_hi:[0,0,0] cbsz:4 blgp:4// 000000005770: D3AC6000 00022917 D3AD0C2C 8CB2F900
	buffer_load_dwordx4 a[32:35], v36, s[92:95], 0 offen       // 000000005780: E05C1000 80972024
	buffer_load_dwordx4 v35, s[20:23], 0 offen lds             // 000000005788: E05D1000 80050023
	s_add_u32 m0, 0, s51                                       // 000000005790: 807C3380
	v_mfma_scale_f32_16x16x128_f8f6f4 v[60:63], a[0:3], v[132:135], v[60:63], v23, v20 op_sel_hi:[0,0,0] cbsz:4 blgp:4// 000000005794: D3AC7000 00022917 D3AD0C3C 8CF30900
	v_mfma_scale_f32_16x16x128_f8f6f4 v[48:51], a[4:7], v[124:127], v[48:51], v23, v20 op_sel_hi:[0,0,0] cbsz:4 blgp:4// 0000000057A4: D3AC6800 00022917 D3AD0C30 8CC2F904
	buffer_load_dwordx4 a[36:39], v37, s[92:95], 0 offen       // 0000000057B4: E05C1000 80972425
	buffer_load_dword v19, v12, s[28:31], 0 offen              // 0000000057BC: E0501000 8007130C
	buffer_load_dword v27, v17, s[32:35], 0 offen              // 0000000057C4: E0501000 80081B11
	buffer_load_dword v28, v18, s[32:35], 0 offen              // 0000000057CC: E0501000 80081C12
	v_mfma_scale_f32_16x16x128_f8f6f4 v[64:67], a[4:7], v[132:135], v[64:67], v23, v20 op_sel_hi:[0,0,0] cbsz:4 blgp:4// 0000000057D4: D3AC7800 00022917 D3AD0C40 8D030904
	s_waitcnt vmcnt(10)                                        // 0000000057E4: BF8C0F7A
	v_mfma_scale_f32_16x16x128_f8f6f4 v[52:55], a[8:11], v[124:127], v[52:55], v24, v20 op_sel_hi:[0,0,0] cbsz:4 blgp:4// 0000000057E8: D3AC6000 00022918 D3AD0C34 8CD2F908
	buffer_load_dwordx4 a[40:43], v38, s[92:95], 0 offen       // 0000000057F8: E05C1000 80972826
	v_mfma_scale_f32_16x16x128_f8f6f4 v[68:71], a[8:11], v[132:135], v[68:71], v24, v20 op_sel_hi:[0,0,0] cbsz:4 blgp:4// 000000005800: D3AC7000 00022918 D3AD0C44 8D130908
	v_mfma_scale_f32_16x16x128_f8f6f4 v[56:59], a[12:15], v[124:127], v[56:59], v24, v20 op_sel_hi:[0,0,0] cbsz:4 blgp:4// 000000005810: D3AC6800 00022918 D3AD0C38 8CE2F90C
	buffer_load_dwordx4 a[44:47], v39, s[92:95], 0 offen       // 000000005820: E05C1000 80972C27
	v_mfma_scale_f32_16x16x128_f8f6f4 v[72:75], a[12:15], v[132:135], v[72:75], v24, v20 op_sel_hi:[0,0,0] cbsz:4 blgp:4// 000000005828: D3AC7800 00022918 D3AD0C48 8D23090C
	s_nop 0                                                    // 000000005838: BF800000
	s_waitcnt vmcnt(10)                                        // 00000000583C: BF8C0F7A
	v_mfma_scale_f32_16x16x128_f8f6f4 v[44:47], a[16:19], v[128:131], v[44:47], v23, v20 op_sel_hi:[0,0,0] cbsz:4 blgp:4// 000000005840: D3AC6000 18022917 D3AD0C2C 8CB30110
	buffer_load_dwordx4 a[48:51], v36, s[92:95], 0 offen offset:1024// 000000005850: E05C1400 80973024
	v_mfma_scale_f32_16x16x128_f8f6f4 v[60:63], a[16:19], v[136:139], v[60:63], v23, v20 op_sel_hi:[0,0,0] cbsz:4 blgp:4// 000000005858: D3AC7000 18022917 D3AD0C3C 8CF31110
	v_mfma_scale_f32_16x16x128_f8f6f4 v[48:51], a[20:23], v[128:131], v[48:51], v23, v20 op_sel_hi:[0,0,0] cbsz:4 blgp:4// 000000005868: D3AC6800 18022917 D3AD0C30 8CC30114
	buffer_load_dwordx4 a[52:55], v37, s[92:95], 0 offen offset:1024// 000000005878: E05C1400 80973425
	v_mfma_scale_f32_16x16x128_f8f6f4 v[64:67], a[20:23], v[136:139], v[64:67], v23, v20 op_sel_hi:[0,0,0] cbsz:4 blgp:4// 000000005880: D3AC7800 18022917 D3AD0C40 8D031114
	s_waitcnt vmcnt(10)                                        // 000000005890: BF8C0F7A
	v_mfma_scale_f32_16x16x128_f8f6f4 v[52:55], a[24:27], v[128:131], v[52:55], v24, v20 op_sel_hi:[0,0,0] cbsz:4 blgp:4// 000000005894: D3AC6000 18022918 D3AD0C34 8CD30118
	buffer_load_dwordx4 a[56:59], v38, s[92:95], 0 offen offset:1024// 0000000058A4: E05C1400 80973826
	v_mfma_scale_f32_16x16x128_f8f6f4 v[68:71], a[24:27], v[136:139], v[68:71], v24, v20 op_sel_hi:[0,0,0] cbsz:4 blgp:4// 0000000058AC: D3AC7000 18022918 D3AD0C44 8D131118
	v_mfma_scale_f32_16x16x128_f8f6f4 v[56:59], a[28:31], v[128:131], v[56:59], v24, v20 op_sel_hi:[0,0,0] cbsz:4 blgp:4// 0000000058BC: D3AC6800 18022918 D3AD0C38 8CE3011C
	buffer_load_dwordx4 a[60:63], v39, s[92:95], 0 offen offset:1024// 0000000058CC: E05C1400 80973C27
	v_mfma_scale_f32_16x16x128_f8f6f4 v[72:75], a[28:31], v[136:139], v[72:75], v24, v20 op_sel_hi:[0,0,0] cbsz:4 blgp:4// 0000000058D4: D3AC7800 18022918 D3AD0C48 8D23111C
	s_add_u32 s60, 0x100, s80                                  // 0000000058E4: 803C50FF 00000100
	s_cmp_lt_u32 s60, s81                                      // 0000000058EC: BF0A513C
	s_cselect_b32 s4, s4, 0                                    // 0000000058F0: 85048004
	s_add_u32 s32, s4, s32                                     // 0000000058F4: 80202004
	s_addc_u32 s33, 0, s33                                     // 0000000058F8: 82212180
	s_waitcnt vmcnt(6)                                         // 0000000058FC: BF8C0F76
	s_barrier                                                  // 000000005900: BF8A0000
	v_mfma_scale_f32_16x16x128_f8f6f4 v[76:79], a[32:35], v[124:127], v[76:79], v27, v20 op_sel_hi:[0,0,0] cbsz:4 blgp:4// 000000005904: D3AC6000 0002291B D3AD0C4C 8D32F920
	buffer_load_dwordx4 a[0:3], v36, s[24:27], 0 offen         // 000000005914: E05C1000 80860024
	buffer_load_dword v21, v15, s[32:35], 0 offen              // 00000000591C: E0501000 8008150F
	buffer_load_dword v22, v16, s[32:35], 0 offen              // 000000005924: E0501000 80081610
	v_mfma_scale_f32_16x16x128_f8f6f4 v[92:95], a[32:35], v[132:135], v[92:95], v27, v20 op_sel_hi:[0,0,0] cbsz:4 blgp:4// 00000000592C: D3AC7000 0002291B D3AD0C5C 8D730920
	v_mfma_scale_f32_16x16x128_f8f6f4 v[80:83], a[36:39], v[124:127], v[80:83], v27, v20 op_sel_hi:[0,0,0] cbsz:4 blgp:4// 00000000593C: D3AC6800 0002291B D3AD0C50 8D42F924
	buffer_load_dwordx4 a[4:7], v37, s[24:27], 0 offen         // 00000000594C: E05C1000 80860425
	v_mfma_scale_f32_16x16x128_f8f6f4 v[96:99], a[36:39], v[132:135], v[96:99], v27, v20 op_sel_hi:[0,0,0] cbsz:4 blgp:4// 000000005954: D3AC7800 0002291B D3AD0C60 8D830924
	s_waitcnt vmcnt(8)                                         // 000000005964: BF8C0F78
	v_mfma_scale_f32_16x16x128_f8f6f4 v[84:87], a[40:43], v[124:127], v[84:87], v28, v20 op_sel_hi:[0,0,0] cbsz:4 blgp:4// 000000005968: D3AC6000 0002291C D3AD0C54 8D52F928
	buffer_load_dwordx4 a[8:11], v38, s[24:27], 0 offen        // 000000005978: E05C1000 80860826
	v_mfma_scale_f32_16x16x128_f8f6f4 v[100:103], a[40:43], v[132:135], v[100:103], v28, v20 op_sel_hi:[0,0,0] cbsz:4 blgp:4// 000000005980: D3AC7000 0002291C D3AD0C64 8D930928
	v_mfma_scale_f32_16x16x128_f8f6f4 v[88:91], a[44:47], v[124:127], v[88:91], v28, v20 op_sel_hi:[0,0,0] cbsz:4 blgp:4// 000000005990: D3AC6800 0002291C D3AD0C58 8D62F92C
	buffer_load_dwordx4 a[12:15], v39, s[24:27], 0 offen       // 0000000059A0: E05C1000 80860C27
	v_mfma_scale_f32_16x16x128_f8f6f4 v[104:107], a[44:47], v[132:135], v[104:107], v28, v20 op_sel_hi:[0,0,0] cbsz:4 blgp:4// 0000000059A8: D3AC7800 0002291C D3AD0C68 8DA3092C
	s_waitcnt vmcnt(8)                                         // 0000000059B8: BF8C0F78
	v_mfma_scale_f32_16x16x128_f8f6f4 v[76:79], a[48:51], v[128:131], v[76:79], v27, v20 op_sel_hi:[0,0,0] cbsz:4 blgp:4// 0000000059BC: D3AC6000 1802291B D3AD0C4C 8D330130
	buffer_load_dwordx4 a[16:19], v36, s[24:27], 0 offen offset:1024// 0000000059CC: E05C1400 80861024
	v_mfma_scale_f32_16x16x128_f8f6f4 v[92:95], a[48:51], v[136:139], v[92:95], v27, v20 op_sel_hi:[0,0,0] cbsz:4 blgp:4// 0000000059D4: D3AC7000 1802291B D3AD0C5C 8D731130
	ds_read_b128 v[108:111], v6                                // 0000000059E4: D9FE0000 6C000006
	ds_read_b128 v[112:115], v6 offset:64                      // 0000000059EC: D9FE0040 70000006
	v_mfma_scale_f32_16x16x128_f8f6f4 v[80:83], a[52:55], v[128:131], v[80:83], v27, v20 op_sel_hi:[0,0,0] cbsz:4 blgp:4// 0000000059F4: D3AC6800 1802291B D3AD0C50 8D430134
	buffer_load_dwordx4 a[20:23], v37, s[24:27], 0 offen offset:1024// 000000005A04: E05C1400 80861425
	v_mfma_scale_f32_16x16x128_f8f6f4 v[96:99], a[52:55], v[136:139], v[96:99], v27, v20 op_sel_hi:[0,0,0] cbsz:4 blgp:4// 000000005A0C: D3AC7800 1802291B D3AD0C60 8D831134
	ds_read_b128 v[116:119], v6 offset:512                     // 000000005A1C: D9FE0200 74000006
	ds_read_b128 v[120:123], v6 offset:576                     // 000000005A24: D9FE0240 78000006
	s_waitcnt vmcnt(8)                                         // 000000005A2C: BF8C0F78
	v_mfma_scale_f32_16x16x128_f8f6f4 v[84:87], a[56:59], v[128:131], v[84:87], v28, v20 op_sel_hi:[0,0,0] cbsz:4 blgp:4// 000000005A30: D3AC6000 1802291C D3AD0C54 8D530138
	buffer_load_dwordx4 a[24:27], v38, s[24:27], 0 offen offset:1024// 000000005A40: E05C1400 80861826
	v_mfma_scale_f32_16x16x128_f8f6f4 v[100:103], a[56:59], v[136:139], v[100:103], v28, v20 op_sel_hi:[0,0,0] cbsz:4 blgp:4// 000000005A48: D3AC7000 1802291C D3AD0C64 8D931138
	v_mfma_scale_f32_16x16x128_f8f6f4 v[88:91], a[60:63], v[128:131], v[88:91], v28, v20 op_sel_hi:[0,0,0] cbsz:4 blgp:4// 000000005A58: D3AC6800 1802291C D3AD0C58 8D63013C
	buffer_load_dwordx4 a[28:31], v39, s[24:27], 0 offen offset:1024// 000000005A68: E05C1400 80861C27
	v_mfma_scale_f32_16x16x128_f8f6f4 v[104:107], a[60:63], v[136:139], v[104:107], v28, v20 op_sel_hi:[0,0,0] cbsz:4 blgp:4// 000000005A70: D3AC7800 1802291C D3AD0C68 8DA3113C
	s_add_u32 s60, 0x200, s80                                  // 000000005A80: 803C50FF 00000200
	s_cmp_lt_u32 s60, s81                                      // 000000005A88: BF0A513C
	s_cselect_b32 s57, s57, 0                                  // 000000005A8C: 85398039
	s_cselect_b32 s3, s3, 0                                    // 000000005A90: 85038003
	s_add_u32 s60, 0x200, s80                                  // 000000005A94: 803C50FF 00000200
	s_cmp_lt_u32 s60, s81                                      // 000000005A9C: BF0A513C
	s_cselect_b32 s58, s58, 0                                  // 000000005AA0: 853A803A
	s_add_u32 s20, s57, s20                                    // 000000005AA4: 80141439
	s_addc_u32 s21, 0, s21                                     // 000000005AA8: 82151580
	s_add_u32 s28, s3, s28                                     // 000000005AAC: 801C1C03
	s_addc_u32 s29, 0, s29                                     // 000000005AB0: 821D1D80
	s_add_u32 s24, s58, s24                                    // 000000005AB4: 8018183A
	s_addc_u32 s25, 0, s25                                     // 000000005AB8: 82191980
	s_add_u32 s92, s90, s92                                    // 000000005ABC: 805C5C5A
	s_addc_u32 s93, 0, s93                                     // 000000005AC0: 825D5D80
	s_addk_i32 s80, 0x100                                      // 000000005AC4: B7500100
	s_cmp_lt_i32 s80, s81                                      // 000000005AC8: BF045150
	s_cbranch_scc0 label_0B35                                  // 000000005ACC: BF840001
	s_branch label_0980                                        // 000000005AD0: BF82FE4B

0000000000005ad4 <label_0B35>:
	s_mov_b32 s36, -1                                          // 000000005AD4: BEA400C1
	s_mov_b32 s37, -1                                          // 000000005AD8: BEA500C1
	s_mov_b64 s[60:61], 0                                      // 000000005ADC: BEBC0180
	s_cmp_lt_u32 s82, s66                                      // 000000005AE0: BF0A4252
	s_cselect_b64 s[20:21], s[36:37], s[60:61]                 // 000000005AE4: 85943C24
	s_cmp_lt_u32 s83, s66                                      // 000000005AE8: BF0A4253
	s_cselect_b64 s[22:23], s[36:37], s[60:61]                 // 000000005AEC: 85963C24
	s_cmp_lt_u32 s84, s66                                      // 000000005AF0: BF0A4254
	s_cselect_b64 s[24:25], s[36:37], s[60:61]                 // 000000005AF4: 85983C24
	s_cmp_lt_u32 s85, s66                                      // 000000005AF8: BF0A4255
	s_cselect_b64 s[26:27], s[36:37], s[60:61]                 // 000000005AFC: 859A3C24
	s_cmp_lt_u32 s86, s66                                      // 000000005B00: BF0A4256
	s_cselect_b64 s[28:29], s[36:37], s[60:61]                 // 000000005B04: 859C3C24
	s_cmp_lt_u32 s87, s66                                      // 000000005B08: BF0A4257
	s_cselect_b64 s[30:31], s[36:37], s[60:61]                 // 000000005B0C: 859E3C24
	s_cmp_lt_u32 s88, s66                                      // 000000005B10: BF0A4258
	s_cselect_b64 s[32:33], s[36:37], s[60:61]                 // 000000005B14: 85A03C24
	s_cmp_lt_u32 s89, s66                                      // 000000005B18: BF0A4259
	s_cselect_b64 s[34:35], s[36:37], s[60:61]                 // 000000005B1C: 85A23C24
	v_mov_b32_e32 v1, 0xbfcc4231                               // 000000005B20: 7E0202FF BFCC4231
	s_waitcnt vmcnt(6)                                         // 000000005B28: BF8C0F76
	buffer_load_dwordx4 a[0:3], v40, s[12:15], 0 offen         // 000000005B2C: E05C1000 80830028
	v_mul_f32_e64 v2, -v44, s6                                 // 000000005B34: D1050002 20000D2C
	v_mul_f32_e64 v3, -v45, s6                                 // 000000005B3C: D1050003 20000D2D
	v_mul_f32_e64 v4, -v46, s6                                 // 000000005B44: D1050004 20000D2E
	v_mul_f32_e64 v5, -v47, s6                                 // 000000005B4C: D1050005 20000D2F
	v_exp_f32_e32 v2, v2                                       // 000000005B54: 7E044102
	v_exp_f32_e32 v3, v3                                       // 000000005B58: 7E064103
	v_exp_f32_e32 v4, v4                                       // 000000005B5C: 7E084104
	v_exp_f32_e32 v5, v5                                       // 000000005B60: 7E0A4105
	buffer_load_dwordx4 a[4:7], v41, s[12:15], 0 offen         // 000000005B64: E05C1000 80830429
	v_add_f32_e64 v2, v2, 1.0                                  // 000000005B6C: D1010002 0001E502
	v_add_f32_e64 v3, v3, 1.0                                  // 000000005B74: D1010003 0001E503
	v_add_f32_e64 v4, v4, 1.0                                  // 000000005B7C: D1010004 0001E504
	v_add_f32_e64 v5, v5, 1.0                                  // 000000005B84: D1010005 0001E505
	v_rcp_f32_e32 v2, v2                                       // 000000005B8C: 7E044502
	v_rcp_f32_e32 v3, v3                                       // 000000005B90: 7E064503
	v_rcp_f32_e32 v4, v4                                       // 000000005B94: 7E084504
	v_rcp_f32_e32 v5, v5                                       // 000000005B98: 7E0A4505
	v_mul_f32_e32 v44, v44, v2                                 // 000000005B9C: 0A58052C
	v_mul_f32_e32 v45, v45, v3                                 // 000000005BA0: 0A5A072D
	v_mul_f32_e32 v46, v46, v4                                 // 000000005BA4: 0A5C092E
	v_mul_f32_e32 v47, v47, v5                                 // 000000005BA8: 0A5E0B2F
	v_mul_f32_e32 v44, v44, v76                                // 000000005BAC: 0A58992C
	v_mul_f32_e32 v45, v45, v77                                // 000000005BB0: 0A5A9B2D
	v_mul_f32_e32 v46, v46, v78                                // 000000005BB4: 0A5C9D2E
	v_mul_f32_e32 v47, v47, v79                                // 000000005BB8: 0A5E9F2F
	s_waitcnt vmcnt(6)                                         // 000000005BBC: BF8C0F76
	buffer_load_dwordx4 a[8:11], v42, s[12:15], 0 offen        // 000000005BC0: E05C1000 8083082A
	v_mul_f32_e64 v2, -v48, s6                                 // 000000005BC8: D1050002 20000D30
	v_mul_f32_e64 v3, -v49, s6                                 // 000000005BD0: D1050003 20000D31
	v_mul_f32_e64 v4, -v50, s6                                 // 000000005BD8: D1050004 20000D32
	v_mul_f32_e64 v5, -v51, s6                                 // 000000005BE0: D1050005 20000D33
	v_exp_f32_e32 v2, v2                                       // 000000005BE8: 7E044102
	v_exp_f32_e32 v3, v3                                       // 000000005BEC: 7E064103
	v_exp_f32_e32 v4, v4                                       // 000000005BF0: 7E084104
	v_exp_f32_e32 v5, v5                                       // 000000005BF4: 7E0A4105
	buffer_load_dwordx4 a[12:15], v43, s[12:15], 0 offen       // 000000005BF8: E05C1000 80830C2B
	v_add_f32_e64 v2, v2, 1.0                                  // 000000005C00: D1010002 0001E502
	v_add_f32_e64 v3, v3, 1.0                                  // 000000005C08: D1010003 0001E503
	v_add_f32_e64 v4, v4, 1.0                                  // 000000005C10: D1010004 0001E504
	v_add_f32_e64 v5, v5, 1.0                                  // 000000005C18: D1010005 0001E505
	v_rcp_f32_e32 v2, v2                                       // 000000005C20: 7E044502
	v_rcp_f32_e32 v3, v3                                       // 000000005C24: 7E064503
	v_rcp_f32_e32 v4, v4                                       // 000000005C28: 7E084504
	v_rcp_f32_e32 v5, v5                                       // 000000005C2C: 7E0A4505
	v_mul_f32_e32 v48, v48, v2                                 // 000000005C30: 0A600530
	v_mul_f32_e32 v49, v49, v3                                 // 000000005C34: 0A620731
	v_mul_f32_e32 v50, v50, v4                                 // 000000005C38: 0A640932
	v_mul_f32_e32 v51, v51, v5                                 // 000000005C3C: 0A660B33
	v_mul_f32_e32 v48, v48, v80                                // 000000005C40: 0A60A130
	v_mul_f32_e32 v49, v49, v81                                // 000000005C44: 0A62A331
	v_mul_f32_e32 v50, v50, v82                                // 000000005C48: 0A64A532
	v_mul_f32_e32 v51, v51, v83                                // 000000005C4C: 0A66A733
	s_waitcnt vmcnt(6)                                         // 000000005C50: BF8C0F76
	buffer_load_dwordx4 a[16:19], v40, s[12:15], 0 offen offset:1024// 000000005C54: E05C1400 80831028
	v_mul_f32_e64 v2, -v52, s6                                 // 000000005C5C: D1050002 20000D34
	v_mul_f32_e64 v3, -v53, s6                                 // 000000005C64: D1050003 20000D35
	v_mul_f32_e64 v4, -v54, s6                                 // 000000005C6C: D1050004 20000D36
	v_mul_f32_e64 v5, -v55, s6                                 // 000000005C74: D1050005 20000D37
	v_exp_f32_e32 v2, v2                                       // 000000005C7C: 7E044102
	v_exp_f32_e32 v3, v3                                       // 000000005C80: 7E064103
	v_exp_f32_e32 v4, v4                                       // 000000005C84: 7E084104
	v_exp_f32_e32 v5, v5                                       // 000000005C88: 7E0A4105
	buffer_load_dwordx4 a[20:23], v41, s[12:15], 0 offen offset:1024// 000000005C8C: E05C1400 80831429
	v_add_f32_e64 v2, v2, 1.0                                  // 000000005C94: D1010002 0001E502
	v_add_f32_e64 v3, v3, 1.0                                  // 000000005C9C: D1010003 0001E503
	v_add_f32_e64 v4, v4, 1.0                                  // 000000005CA4: D1010004 0001E504
	v_add_f32_e64 v5, v5, 1.0                                  // 000000005CAC: D1010005 0001E505
	v_rcp_f32_e32 v2, v2                                       // 000000005CB4: 7E044502
	v_rcp_f32_e32 v3, v3                                       // 000000005CB8: 7E064503
	v_rcp_f32_e32 v4, v4                                       // 000000005CBC: 7E084504
	v_rcp_f32_e32 v5, v5                                       // 000000005CC0: 7E0A4505
	v_mul_f32_e32 v52, v52, v2                                 // 000000005CC4: 0A680534
	v_mul_f32_e32 v53, v53, v3                                 // 000000005CC8: 0A6A0735
	v_mul_f32_e32 v54, v54, v4                                 // 000000005CCC: 0A6C0936
	v_mul_f32_e32 v55, v55, v5                                 // 000000005CD0: 0A6E0B37
	v_mul_f32_e32 v52, v52, v84                                // 000000005CD4: 0A68A934
	v_mul_f32_e32 v53, v53, v85                                // 000000005CD8: 0A6AAB35
	v_mul_f32_e32 v54, v54, v86                                // 000000005CDC: 0A6CAD36
	v_mul_f32_e32 v55, v55, v87                                // 000000005CE0: 0A6EAF37
	s_waitcnt vmcnt(6)                                         // 000000005CE4: BF8C0F76
	buffer_load_dwordx4 a[24:27], v42, s[12:15], 0 offen offset:1024// 000000005CE8: E05C1400 8083182A
	v_mul_f32_e64 v2, -v56, s6                                 // 000000005CF0: D1050002 20000D38
	v_mul_f32_e64 v3, -v57, s6                                 // 000000005CF8: D1050003 20000D39
	v_mul_f32_e64 v4, -v58, s6                                 // 000000005D00: D1050004 20000D3A
	v_mul_f32_e64 v5, -v59, s6                                 // 000000005D08: D1050005 20000D3B
	v_exp_f32_e32 v2, v2                                       // 000000005D10: 7E044102
	v_exp_f32_e32 v3, v3                                       // 000000005D14: 7E064103
	v_exp_f32_e32 v4, v4                                       // 000000005D18: 7E084104
	v_exp_f32_e32 v5, v5                                       // 000000005D1C: 7E0A4105
	buffer_load_dwordx4 a[28:31], v43, s[12:15], 0 offen offset:1024// 000000005D20: E05C1400 80831C2B
	v_add_f32_e64 v2, v2, 1.0                                  // 000000005D28: D1010002 0001E502
	v_add_f32_e64 v3, v3, 1.0                                  // 000000005D30: D1010003 0001E503
	v_add_f32_e64 v4, v4, 1.0                                  // 000000005D38: D1010004 0001E504
	v_add_f32_e64 v5, v5, 1.0                                  // 000000005D40: D1010005 0001E505
	v_rcp_f32_e32 v2, v2                                       // 000000005D48: 7E044502
	v_rcp_f32_e32 v3, v3                                       // 000000005D4C: 7E064503
	v_rcp_f32_e32 v4, v4                                       // 000000005D50: 7E084504
	v_rcp_f32_e32 v5, v5                                       // 000000005D54: 7E0A4505
	v_mul_f32_e32 v56, v56, v2                                 // 000000005D58: 0A700538
	v_mul_f32_e32 v57, v57, v3                                 // 000000005D5C: 0A720739
	v_mul_f32_e32 v58, v58, v4                                 // 000000005D60: 0A74093A
	v_mul_f32_e32 v59, v59, v5                                 // 000000005D64: 0A760B3B
	v_mul_f32_e32 v56, v56, v88                                // 000000005D68: 0A70B138
	v_mul_f32_e32 v57, v57, v89                                // 000000005D6C: 0A72B339
	v_mul_f32_e32 v58, v58, v90                                // 000000005D70: 0A74B53A
	v_mul_f32_e32 v59, v59, v91                                // 000000005D74: 0A76B73B
	s_waitcnt vmcnt(6)                                         // 000000005D78: BF8C0F76
	v_mul_f32_e64 v2, -v60, s6                                 // 000000005D7C: D1050002 20000D3C
	v_mul_f32_e64 v3, -v61, s6                                 // 000000005D84: D1050003 20000D3D
	v_mul_f32_e64 v4, -v62, s6                                 // 000000005D8C: D1050004 20000D3E
	v_mul_f32_e64 v5, -v63, s6                                 // 000000005D94: D1050005 20000D3F
	v_exp_f32_e32 v2, v2                                       // 000000005D9C: 7E044102
	v_exp_f32_e32 v3, v3                                       // 000000005DA0: 7E064103
	v_exp_f32_e32 v4, v4                                       // 000000005DA4: 7E084104
	v_exp_f32_e32 v5, v5                                       // 000000005DA8: 7E0A4105
	v_add_f32_e64 v2, v2, 1.0                                  // 000000005DAC: D1010002 0001E502
	v_add_f32_e64 v3, v3, 1.0                                  // 000000005DB4: D1010003 0001E503
	v_add_f32_e64 v4, v4, 1.0                                  // 000000005DBC: D1010004 0001E504
	v_add_f32_e64 v5, v5, 1.0                                  // 000000005DC4: D1010005 0001E505
	v_rcp_f32_e32 v2, v2                                       // 000000005DCC: 7E044502
	v_rcp_f32_e32 v3, v3                                       // 000000005DD0: 7E064503
	v_rcp_f32_e32 v4, v4                                       // 000000005DD4: 7E084504
	v_rcp_f32_e32 v5, v5                                       // 000000005DD8: 7E0A4505
	v_mul_f32_e32 v60, v60, v2                                 // 000000005DDC: 0A78053C
	v_mul_f32_e32 v61, v61, v3                                 // 000000005DE0: 0A7A073D
	v_mul_f32_e32 v62, v62, v4                                 // 000000005DE4: 0A7C093E
	v_mul_f32_e32 v63, v63, v5                                 // 000000005DE8: 0A7E0B3F
	v_mul_f32_e32 v60, v60, v92                                // 000000005DEC: 0A78B93C
	v_mul_f32_e32 v61, v61, v93                                // 000000005DF0: 0A7ABB3D
	v_mul_f32_e32 v62, v62, v94                                // 000000005DF4: 0A7CBD3E
	v_mul_f32_e32 v63, v63, v95                                // 000000005DF8: 0A7EBF3F
	s_waitcnt vmcnt(6)                                         // 000000005DFC: BF8C0F76
	v_mul_f32_e64 v2, -v64, s6                                 // 000000005E00: D1050002 20000D40
	v_mul_f32_e64 v3, -v65, s6                                 // 000000005E08: D1050003 20000D41
	v_mul_f32_e64 v4, -v66, s6                                 // 000000005E10: D1050004 20000D42
	v_mul_f32_e64 v5, -v67, s6                                 // 000000005E18: D1050005 20000D43
	v_exp_f32_e32 v2, v2                                       // 000000005E20: 7E044102
	v_exp_f32_e32 v3, v3                                       // 000000005E24: 7E064103
	v_exp_f32_e32 v4, v4                                       // 000000005E28: 7E084104
	v_exp_f32_e32 v5, v5                                       // 000000005E2C: 7E0A4105
	v_add_f32_e64 v2, v2, 1.0                                  // 000000005E30: D1010002 0001E502
	v_add_f32_e64 v3, v3, 1.0                                  // 000000005E38: D1010003 0001E503
	v_add_f32_e64 v4, v4, 1.0                                  // 000000005E40: D1010004 0001E504
	v_add_f32_e64 v5, v5, 1.0                                  // 000000005E48: D1010005 0001E505
	v_rcp_f32_e32 v2, v2                                       // 000000005E50: 7E044502
	v_rcp_f32_e32 v3, v3                                       // 000000005E54: 7E064503
	v_rcp_f32_e32 v4, v4                                       // 000000005E58: 7E084504
	v_rcp_f32_e32 v5, v5                                       // 000000005E5C: 7E0A4505
	v_mul_f32_e32 v64, v64, v2                                 // 000000005E60: 0A800540
	v_mul_f32_e32 v65, v65, v3                                 // 000000005E64: 0A820741
	v_mul_f32_e32 v66, v66, v4                                 // 000000005E68: 0A840942
	v_mul_f32_e32 v67, v67, v5                                 // 000000005E6C: 0A860B43
	v_mul_f32_e32 v64, v64, v96                                // 000000005E70: 0A80C140
	v_mul_f32_e32 v65, v65, v97                                // 000000005E74: 0A82C341
	v_mul_f32_e32 v66, v66, v98                                // 000000005E78: 0A84C542
	v_mul_f32_e32 v67, v67, v99                                // 000000005E7C: 0A86C743
	s_waitcnt vmcnt(6)                                         // 000000005E80: BF8C0F76
	v_mul_f32_e64 v2, -v68, s6                                 // 000000005E84: D1050002 20000D44
	v_mul_f32_e64 v3, -v69, s6                                 // 000000005E8C: D1050003 20000D45
	v_mul_f32_e64 v4, -v70, s6                                 // 000000005E94: D1050004 20000D46
	v_mul_f32_e64 v5, -v71, s6                                 // 000000005E9C: D1050005 20000D47
	v_exp_f32_e32 v2, v2                                       // 000000005EA4: 7E044102
	v_exp_f32_e32 v3, v3                                       // 000000005EA8: 7E064103
	v_exp_f32_e32 v4, v4                                       // 000000005EAC: 7E084104
	v_exp_f32_e32 v5, v5                                       // 000000005EB0: 7E0A4105
	v_add_f32_e64 v2, v2, 1.0                                  // 000000005EB4: D1010002 0001E502
	v_add_f32_e64 v3, v3, 1.0                                  // 000000005EBC: D1010003 0001E503
	v_add_f32_e64 v4, v4, 1.0                                  // 000000005EC4: D1010004 0001E504
	v_add_f32_e64 v5, v5, 1.0                                  // 000000005ECC: D1010005 0001E505
	v_rcp_f32_e32 v2, v2                                       // 000000005ED4: 7E044502
	v_rcp_f32_e32 v3, v3                                       // 000000005ED8: 7E064503
	v_rcp_f32_e32 v4, v4                                       // 000000005EDC: 7E084504
	v_rcp_f32_e32 v5, v5                                       // 000000005EE0: 7E0A4505
	v_mul_f32_e32 v68, v68, v2                                 // 000000005EE4: 0A880544
	v_mul_f32_e32 v69, v69, v3                                 // 000000005EE8: 0A8A0745
	v_mul_f32_e32 v70, v70, v4                                 // 000000005EEC: 0A8C0946
	v_mul_f32_e32 v71, v71, v5                                 // 000000005EF0: 0A8E0B47
	v_mul_f32_e32 v68, v68, v100                               // 000000005EF4: 0A88C944
	v_mul_f32_e32 v69, v69, v101                               // 000000005EF8: 0A8ACB45
	v_mul_f32_e32 v70, v70, v102                               // 000000005EFC: 0A8CCD46
	v_mul_f32_e32 v71, v71, v103                               // 000000005F00: 0A8ECF47
	s_waitcnt vmcnt(6)                                         // 000000005F04: BF8C0F76
	v_mul_f32_e64 v2, -v72, s6                                 // 000000005F08: D1050002 20000D48
	v_mul_f32_e64 v3, -v73, s6                                 // 000000005F10: D1050003 20000D49
	v_mul_f32_e64 v4, -v74, s6                                 // 000000005F18: D1050004 20000D4A
	v_mul_f32_e64 v5, -v75, s6                                 // 000000005F20: D1050005 20000D4B
	v_exp_f32_e32 v2, v2                                       // 000000005F28: 7E044102
	v_exp_f32_e32 v3, v3                                       // 000000005F2C: 7E064103
	v_exp_f32_e32 v4, v4                                       // 000000005F30: 7E084104
	v_exp_f32_e32 v5, v5                                       // 000000005F34: 7E0A4105
	v_add_f32_e64 v2, v2, 1.0                                  // 000000005F38: D1010002 0001E502
	v_add_f32_e64 v3, v3, 1.0                                  // 000000005F40: D1010003 0001E503
	v_add_f32_e64 v4, v4, 1.0                                  // 000000005F48: D1010004 0001E504
	v_add_f32_e64 v5, v5, 1.0                                  // 000000005F50: D1010005 0001E505
	v_rcp_f32_e32 v2, v2                                       // 000000005F58: 7E044502
	v_rcp_f32_e32 v3, v3                                       // 000000005F5C: 7E064503
	v_rcp_f32_e32 v4, v4                                       // 000000005F60: 7E084504
	v_rcp_f32_e32 v5, v5                                       // 000000005F64: 7E0A4505
	v_mul_f32_e32 v72, v72, v2                                 // 000000005F68: 0A900548
	v_mul_f32_e32 v73, v73, v3                                 // 000000005F6C: 0A920749
	v_mul_f32_e32 v74, v74, v4                                 // 000000005F70: 0A94094A
	v_mul_f32_e32 v75, v75, v5                                 // 000000005F74: 0A960B4B
	v_mul_f32_e32 v72, v72, v104                               // 000000005F78: 0A90D148
	v_mul_f32_e32 v73, v73, v105                               // 000000005F7C: 0A92D349
	v_mul_f32_e32 v74, v74, v106                               // 000000005F80: 0A94D54A
	v_mul_f32_e32 v75, v75, v107                               // 000000005F84: 0A96D74B
	v_lshlrev_b32_e32 v2, 2, v0                                // 000000005F88: 24040082
	s_mul_i32 s60, s82, s71                                    // 000000005F8C: 923C4752
	v_add_u32_e64 v92, v2, s60                                 // 000000005F90: D134005C 00007902
	v_mov_b32_e32 v93, 0                                       // 000000005F98: 7EBA0280
	s_mul_i32 s60, s83, s71                                    // 000000005F9C: 923C4753
	v_add_u32_e64 v94, v2, s60                                 // 000000005FA0: D134005E 00007902
	v_mov_b32_e32 v95, 0                                       // 000000005FA8: 7EBE0280
	s_mul_i32 s60, s84, s71                                    // 000000005FAC: 923C4754
	v_add_u32_e64 v96, v2, s60                                 // 000000005FB0: D1340060 00007902
	v_mov_b32_e32 v97, 0                                       // 000000005FB8: 7EC20280
	s_mul_i32 s60, s85, s71                                    // 000000005FBC: 923C4755
	v_add_u32_e64 v98, v2, s60                                 // 000000005FC0: D1340062 00007902
	v_mov_b32_e32 v99, 0                                       // 000000005FC8: 7EC60280
	s_mul_i32 s60, s86, s71                                    // 000000005FCC: 923C4756
	v_add_u32_e64 v100, v2, s60                                // 000000005FD0: D1340064 00007902
	v_mov_b32_e32 v101, 0                                      // 000000005FD8: 7ECA0280
	s_mul_i32 s60, s87, s71                                    // 000000005FDC: 923C4757
	v_add_u32_e64 v102, v2, s60                                // 000000005FE0: D1340066 00007902
	v_mov_b32_e32 v103, 0                                      // 000000005FE8: 7ECE0280
	s_mul_i32 s60, s88, s71                                    // 000000005FEC: 923C4758
	v_add_u32_e64 v104, v2, s60                                // 000000005FF0: D1340068 00007902
	v_mov_b32_e32 v105, 0                                      // 000000005FF8: 7ED20280
	s_mul_i32 s60, s89, s71                                    // 000000005FFC: 923C4759
	v_add_u32_e64 v106, v2, s60                                // 000000006000: D134006A 00007902
	v_mov_b32_e32 v107, 0                                      // 000000006008: 7ED60280
	buffer_load_dword v21, v10, s[16:19], 0 offen              // 00000000600C: E0501000 8004150A
	buffer_load_dword v22, v11, s[16:19], 0 offen              // 000000006014: E0501000 8004160B
	v_mov_b32_e32 v31, 0x358637bd                              // 00000000601C: 7E3E02FF 358637BD
	v_mov_b32_e32 v32, 0x358637bd                              // 000000006024: 7E4002FF 358637BD
	v_max3_f32 v31, |v44|, |v45|, v31                          // 00000000602C: D1D3031F 047E5B2C
	v_max3_f32 v31, |v46|, |v47|, v31                          // 000000006034: D1D3031F 047E5F2E
	v_max3_f32 v31, |v48|, |v49|, v31                          // 00000000603C: D1D3031F 047E6330
	v_max3_f32 v31, |v50|, |v51|, v31                          // 000000006044: D1D3031F 047E6732
	v_max3_f32 v32, |v60|, |v61|, v32                          // 00000000604C: D1D30320 04827B3C
	v_max3_f32 v32, |v62|, |v63|, v32                          // 000000006054: D1D30320 04827F3E
	v_max3_f32 v32, |v64|, |v65|, v32                          // 00000000605C: D1D30320 04828340
	v_max3_f32 v32, |v66|, |v67|, v32                          // 000000006064: D1D30320 04828742
	v_mov_b32_e32 v2, v31                                      // 00000000606C: 7E04031F
	s_nop 1                                                    // 000000006070: BF800001
	v_permlane32_swap_b32_e32 v2, v31                          // 000000006074: 7E04B51F
	v_max_f32_e32 v31, v2, v31                                 // 000000006078: 163E3F02
	v_mov_b32_e32 v2, v31                                      // 00000000607C: 7E04031F
	s_nop 1                                                    // 000000006080: BF800001
	v_permlane16_swap_b32_e32 v2, v31                          // 000000006084: 7E04B31F
	v_max_f32_e32 v31, v2, v31                                 // 000000006088: 163E3F02
	v_mov_b32_e32 v2, v32                                      // 00000000608C: 7E040320
	s_nop 1                                                    // 000000006090: BF800001
	v_permlane32_swap_b32_e32 v2, v32                          // 000000006094: 7E04B520
	v_max_f32_e32 v32, v2, v32                                 // 000000006098: 16404102
	v_mov_b32_e32 v2, v32                                      // 00000000609C: 7E040320
	s_nop 1                                                    // 0000000060A0: BF800001
	v_permlane16_swap_b32_e32 v2, v32                          // 0000000060A4: 7E04B320
	v_max_f32_e32 v32, v2, v32                                 // 0000000060A8: 16404102
	v_mov_b32_e32 v2, 0x3e800000                               // 0000000060AC: 7E0402FF 3E800000
	v_mul_f32_e32 v31, v2, v31                                 // 0000000060B4: 0A3E3F02
	v_mul_f32_e32 v32, v2, v32                                 // 0000000060B8: 0A404102
	v_mov_b32_e32 v1, 0x7fff0000                               // 0000000060BC: 7E0202FF 7FFF0000
	v_mov_b32_e32 v5, 0x7fbfffff                               // 0000000060C4: 7E0A02FF 7FBFFFFF
	v_bfe_u32 v2, v31, 22, 1                                   // 0000000060CC: D1C80002 02052D1F
	v_and_b32_e32 v3, v31, v5                                  // 0000000060D4: 26060B1F
	v_cmp_eq_u32_e64 s[60:61], v3, 0                           // 0000000060D8: D0CA003C 00010103
	v_cndmask_b32_e64 v4, 1, 0, s[60:61]                       // 0000000060E0: D1000004 00F10081
	v_and_b32_e32 v4, v4, v2                                   // 0000000060E8: 26080504
	v_bfe_u32 v5, v31, 23, 8                                   // 0000000060EC: D1C80005 02212F1F
	v_add_u32_e32 v5, v5, v4                                   // 0000000060F4: 680A0905
	v_cmp_u_f32_e64 s[60:61], v31, v31                         // 0000000060F8: D048003C 00023F1F
	v_lshlrev_b32_e32 v31, 23, v5                              // 000000006100: 243E0A97
	v_cndmask_b32_e64 v31, v31, v1, s[60:61]                   // 000000006104: D100001F 00F2031F
	v_mov_b32_e32 v5, 0x7fbfffff                               // 00000000610C: 7E0A02FF 7FBFFFFF
	v_bfe_u32 v2, v32, 22, 1                                   // 000000006114: D1C80002 02052D20
	v_and_b32_e32 v3, v32, v5                                  // 00000000611C: 26060B20
	v_cmp_eq_u32_e64 s[60:61], v3, 0                           // 000000006120: D0CA003C 00010103
	v_cndmask_b32_e64 v4, 1, 0, s[60:61]                       // 000000006128: D1000004 00F10081
	v_and_b32_e32 v4, v4, v2                                   // 000000006130: 26080504
	v_bfe_u32 v5, v32, 23, 8                                   // 000000006134: D1C80005 02212F20
	v_add_u32_e32 v5, v5, v4                                   // 00000000613C: 680A0905
	v_cmp_u_f32_e64 s[60:61], v32, v32                         // 000000006140: D048003C 00024120
	v_lshlrev_b32_e32 v32, 23, v5                              // 000000006148: 24400A97
	v_cndmask_b32_e64 v32, v32, v1, s[60:61]                   // 00000000614C: D1000020 00F20320
	s_mov_b32 s60, 0xffff                                      // 000000006154: BEBC00FF 0000FFFF
	v_cvt_scalef32_pk_fp4_f32 v44, v44, v45, v31               // 00000000615C: D23D002C 047E5B2C
	v_cvt_scalef32_pk_fp4_f32 v44, v46, v47, v31 op_sel:[0,0,1,0]// 000000006164: D23D202C 047E5F2E
	v_cvt_scalef32_pk_fp4_f32 v48, v48, v49, v31               // 00000000616C: D23D0030 047E6330
	v_cvt_scalef32_pk_fp4_f32 v48, v50, v51, v31 op_sel:[0,0,1,0]// 000000006174: D23D2030 047E6732
	s_nop 1                                                    // 00000000617C: BF800001
	v_permlane16_swap_b32_e32 v44, v48                         // 000000006180: 7E58B330
	s_nop 1                                                    // 000000006184: BF800001
	v_and_b32_e64 v44, v44, s60                                // 000000006188: D113002C 0000792C
	v_lshlrev_b32_e32 v48, 16, v48                             // 000000006190: 24606090
	v_or_b32_e32 v44, v44, v48                                 // 000000006194: 2858612C
	v_mov_b32_e32 v48, v44                                     // 000000006198: 7E60032C
	s_nop 1                                                    // 00000000619C: BF800001
	v_permlane32_swap_b32_e32 v44, v48                         // 0000000061A0: 7E58B530
	s_nop 1                                                    // 0000000061A4: BF800001
	v_permlane16_swap_b32_e32 v44, v48                         // 0000000061A8: 7E58B330
	s_nop 1                                                    // 0000000061AC: BF800001
	v_permlane32_swap_b32_e32 v44, v48                         // 0000000061B0: 7E58B530
	s_nop 1                                                    // 0000000061B4: BF800001
	v_cvt_scalef32_pk_fp4_f32 v60, v60, v61, v32               // 0000000061B8: D23D003C 04827B3C
	v_cvt_scalef32_pk_fp4_f32 v60, v62, v63, v32 op_sel:[0,0,1,0]// 0000000061C0: D23D203C 04827F3E
	v_cvt_scalef32_pk_fp4_f32 v64, v64, v65, v32               // 0000000061C8: D23D0040 04828340
	v_cvt_scalef32_pk_fp4_f32 v64, v66, v67, v32 op_sel:[0,0,1,0]// 0000000061D0: D23D2040 04828742
	s_nop 1                                                    // 0000000061D8: BF800001
	v_permlane16_swap_b32_e32 v60, v64                         // 0000000061DC: 7E78B340
	s_nop 1                                                    // 0000000061E0: BF800001
	v_and_b32_e64 v60, v60, s60                                // 0000000061E4: D113003C 0000793C
	v_lshlrev_b32_e32 v64, 16, v64                             // 0000000061EC: 24808090
	v_or_b32_e32 v60, v60, v64                                 // 0000000061F0: 2878813C
	v_mov_b32_e32 v64, v60                                     // 0000000061F4: 7E80033C
	s_nop 1                                                    // 0000000061F8: BF800001
	v_permlane32_swap_b32_e32 v60, v64                         // 0000000061FC: 7E78B540
	s_nop 1                                                    // 000000006200: BF800001
	v_permlane16_swap_b32_e32 v60, v64                         // 000000006204: 7E78B340
	s_nop 1                                                    // 000000006208: BF800001
	v_permlane32_swap_b32_e32 v60, v64                         // 00000000620C: 7E78B540
	s_nop 1                                                    // 000000006210: BF800001
	v_mov_b32_e32 v33, 0x358637bd                              // 000000006214: 7E4202FF 358637BD
	v_mov_b32_e32 v34, 0x358637bd                              // 00000000621C: 7E4402FF 358637BD
	v_max3_f32 v33, |v52|, |v53|, v33                          // 000000006224: D1D30321 04866B34
	v_max3_f32 v33, |v54|, |v55|, v33                          // 00000000622C: D1D30321 04866F36
	v_max3_f32 v33, |v56|, |v57|, v33                          // 000000006234: D1D30321 04867338
	v_max3_f32 v33, |v58|, |v59|, v33                          // 00000000623C: D1D30321 0486773A
	v_max3_f32 v34, |v68|, |v69|, v34                          // 000000006244: D1D30322 048A8B44
	v_max3_f32 v34, |v70|, |v71|, v34                          // 00000000624C: D1D30322 048A8F46
	v_max3_f32 v34, |v72|, |v73|, v34                          // 000000006254: D1D30322 048A9348
	v_max3_f32 v34, |v74|, |v75|, v34                          // 00000000625C: D1D30322 048A974A
	v_mov_b32_e32 v2, v33                                      // 000000006264: 7E040321
	s_nop 1                                                    // 000000006268: BF800001
	v_permlane32_swap_b32_e32 v2, v33                          // 00000000626C: 7E04B521
	v_max_f32_e32 v33, v2, v33                                 // 000000006270: 16424302
	v_mov_b32_e32 v2, v33                                      // 000000006274: 7E040321
	s_nop 1                                                    // 000000006278: BF800001
	v_permlane16_swap_b32_e32 v2, v33                          // 00000000627C: 7E04B321
	v_max_f32_e32 v33, v2, v33                                 // 000000006280: 16424302
	v_mov_b32_e32 v2, v34                                      // 000000006284: 7E040322
	s_nop 1                                                    // 000000006288: BF800001
	v_permlane32_swap_b32_e32 v2, v34                          // 00000000628C: 7E04B522
	v_max_f32_e32 v34, v2, v34                                 // 000000006290: 16444502
	v_mov_b32_e32 v2, v34                                      // 000000006294: 7E040322
	s_nop 1                                                    // 000000006298: BF800001
	v_permlane16_swap_b32_e32 v2, v34                          // 00000000629C: 7E04B322
	v_max_f32_e32 v34, v2, v34                                 // 0000000062A0: 16444502
	v_mov_b32_e32 v2, 0x3e800000                               // 0000000062A4: 7E0402FF 3E800000
	v_mul_f32_e32 v33, v2, v33                                 // 0000000062AC: 0A424302
	v_mul_f32_e32 v34, v2, v34                                 // 0000000062B0: 0A444502
	v_mov_b32_e32 v1, 0x7fff0000                               // 0000000062B4: 7E0202FF 7FFF0000
	v_mov_b32_e32 v5, 0x7fbfffff                               // 0000000062BC: 7E0A02FF 7FBFFFFF
	v_bfe_u32 v2, v33, 22, 1                                   // 0000000062C4: D1C80002 02052D21
	v_and_b32_e32 v3, v33, v5                                  // 0000000062CC: 26060B21
	v_cmp_eq_u32_e64 s[60:61], v3, 0                           // 0000000062D0: D0CA003C 00010103
	v_cndmask_b32_e64 v4, 1, 0, s[60:61]                       // 0000000062D8: D1000004 00F10081
	v_and_b32_e32 v4, v4, v2                                   // 0000000062E0: 26080504
	v_bfe_u32 v5, v33, 23, 8                                   // 0000000062E4: D1C80005 02212F21
	v_add_u32_e32 v5, v5, v4                                   // 0000000062EC: 680A0905
	v_cmp_u_f32_e64 s[60:61], v33, v33                         // 0000000062F0: D048003C 00024321
	v_lshlrev_b32_e32 v33, 23, v5                              // 0000000062F8: 24420A97
	v_cndmask_b32_e64 v33, v33, v1, s[60:61]                   // 0000000062FC: D1000021 00F20321
	v_mov_b32_e32 v5, 0x7fbfffff                               // 000000006304: 7E0A02FF 7FBFFFFF
	v_bfe_u32 v2, v34, 22, 1                                   // 00000000630C: D1C80002 02052D22
	v_and_b32_e32 v3, v34, v5                                  // 000000006314: 26060B22
	v_cmp_eq_u32_e64 s[60:61], v3, 0                           // 000000006318: D0CA003C 00010103
	v_cndmask_b32_e64 v4, 1, 0, s[60:61]                       // 000000006320: D1000004 00F10081
	v_and_b32_e32 v4, v4, v2                                   // 000000006328: 26080504
	v_bfe_u32 v5, v34, 23, 8                                   // 00000000632C: D1C80005 02212F22
	v_add_u32_e32 v5, v5, v4                                   // 000000006334: 680A0905
	v_cmp_u_f32_e64 s[60:61], v34, v34                         // 000000006338: D048003C 00024522
	v_lshlrev_b32_e32 v34, 23, v5                              // 000000006340: 24440A97
	v_cndmask_b32_e64 v34, v34, v1, s[60:61]                   // 000000006344: D1000022 00F20322
	s_mov_b32 s60, 0xffff                                      // 00000000634C: BEBC00FF 0000FFFF
	v_cvt_scalef32_pk_fp4_f32 v52, v52, v53, v33               // 000000006354: D23D0034 04866B34
	v_cvt_scalef32_pk_fp4_f32 v52, v54, v55, v33 op_sel:[0,0,1,0]// 00000000635C: D23D2034 04866F36
	v_cvt_scalef32_pk_fp4_f32 v56, v56, v57, v33               // 000000006364: D23D0038 04867338
	v_cvt_scalef32_pk_fp4_f32 v56, v58, v59, v33 op_sel:[0,0,1,0]// 00000000636C: D23D2038 0486773A
	s_nop 1                                                    // 000000006374: BF800001
	v_permlane16_swap_b32_e32 v52, v56                         // 000000006378: 7E68B338
	s_nop 1                                                    // 00000000637C: BF800001
	v_and_b32_e64 v52, v52, s60                                // 000000006380: D1130034 00007934
	v_lshlrev_b32_e32 v56, 16, v56                             // 000000006388: 24707090
	v_or_b32_e32 v52, v52, v56                                 // 00000000638C: 28687134
	v_mov_b32_e32 v56, v52                                     // 000000006390: 7E700334
	s_nop 1                                                    // 000000006394: BF800001
	v_permlane32_swap_b32_e32 v52, v56                         // 000000006398: 7E68B538
	s_nop 1                                                    // 00000000639C: BF800001
	v_permlane16_swap_b32_e32 v52, v56                         // 0000000063A0: 7E68B338
	s_nop 1                                                    // 0000000063A4: BF800001
	v_permlane32_swap_b32_e32 v52, v56                         // 0000000063A8: 7E68B538
	s_nop 1                                                    // 0000000063AC: BF800001
	v_cvt_scalef32_pk_fp4_f32 v68, v68, v69, v34               // 0000000063B0: D23D0044 048A8B44
	v_cvt_scalef32_pk_fp4_f32 v68, v70, v71, v34 op_sel:[0,0,1,0]// 0000000063B8: D23D2044 048A8F46
	v_cvt_scalef32_pk_fp4_f32 v72, v72, v73, v34               // 0000000063C0: D23D0048 048A9348
	v_cvt_scalef32_pk_fp4_f32 v72, v74, v75, v34 op_sel:[0,0,1,0]// 0000000063C8: D23D2048 048A974A
	s_nop 1                                                    // 0000000063D0: BF800001
	v_permlane16_swap_b32_e32 v68, v72                         // 0000000063D4: 7E88B348
	s_nop 1                                                    // 0000000063D8: BF800001
	v_and_b32_e64 v68, v68, s60                                // 0000000063DC: D1130044 00007944
	v_lshlrev_b32_e32 v72, 16, v72                             // 0000000063E4: 24909090
	v_or_b32_e32 v68, v68, v72                                 // 0000000063E8: 28889144
	v_mov_b32_e32 v72, v68                                     // 0000000063EC: 7E900344
	s_nop 1                                                    // 0000000063F0: BF800001
	v_permlane32_swap_b32_e32 v68, v72                         // 0000000063F4: 7E88B548
	s_nop 1                                                    // 0000000063F8: BF800001
	v_permlane16_swap_b32_e32 v68, v72                         // 0000000063FC: 7E88B348
	s_nop 1                                                    // 000000006400: BF800001
	v_permlane32_swap_b32_e32 v68, v72                         // 000000006404: 7E88B548
	s_nop 1                                                    // 000000006408: BF800001
	v_lshrrev_b32_e32 v2, 5, v0                                // 00000000640C: 20040085
	v_lshlrev_b32_e32 v3, 6, v2                                // 000000006410: 24060486
	v_and_b32_e32 v2, 31, v0                                   // 000000006414: 2604009F
	v_lshrrev_b32_e32 v4, 4, v2                                // 000000006418: 20080484
	v_add_u32_e32 v3, v4, v3                                   // 00000000641C: 68060704
	v_and_b32_e32 v2, 15, v0                                   // 000000006420: 2604008F
	v_lshlrev_b32_e32 v2, 1, v2                                // 000000006424: 24040481
	v_add_u32_e32 v3, v2, v3                                   // 000000006428: 68060702
	v_lshlrev_b32_e32 v2, 2, v3                                // 00000000642C: 24040682
	s_mov_b32 s60, 0                                           // 000000006430: BEBC0080
	s_lshr_b32 s61, s7, 1                                      // 000000006434: 8F3D8107
	s_mul_i32 s61, s61, 0x200                                  // 000000006438: 923DFF3D 00000200
	s_add_u32 s60, s61, s60                                    // 000000006440: 803C3C3D
	s_and_b32 s61, s7, 1                                       // 000000006444: 863D8107
	s_mul_i32 s61, s61, 0x80                                   // 000000006448: 923DFF3D 00000080
	s_add_u32 s60, s61, s60                                    // 000000006450: 803C3C3D
	v_add_u32_e64 v2, v2, s60                                  // 000000006454: D1340002 00007902
	ds_write_b32 v2, v44                                       // 00000000645C: D81A0000 00002C02
	ds_write_b32 v2, v52 offset:1024                           // 000000006464: D81A0400 00003402
	ds_write_b32 v2, v60 offset:2048                           // 00000000646C: D81A0800 00003C02
	ds_write_b32 v2, v68 offset:3072                           // 000000006474: D81A0C00 00004402
	s_waitcnt lgkmcnt(0)                                       // 00000000647C: BF8CC07F
	s_barrier                                                  // 000000006480: BF8A0000
	v_and_b32_e32 v2, 31, v0                                   // 000000006484: 2604009F
	v_lshrrev_b32_e32 v2, 4, v2                                // 000000006488: 20040484
	v_lshlrev_b32_e32 v3, 5, v2                                // 00000000648C: 24060485
	v_lshrrev_b32_e32 v2, 5, v0                                // 000000006490: 20040085
	v_lshlrev_b32_e32 v2, 7, v2                                // 000000006494: 24040487
	v_add_u32_e32 v3, v2, v3                                   // 000000006498: 68060702
	v_and_b32_e32 v2, 15, v0                                   // 00000000649C: 2604008F
	v_lshlrev_b32_e32 v2, 1, v2                                // 0000000064A0: 24040481
	v_add_u32_e32 v3, v2, v3                                   // 0000000064A4: 68060702
	v_lshlrev_b32_e32 v2, 2, v3                                // 0000000064A8: 24040682
	ds_read_b64 v[44:45], v2                                   // 0000000064AC: D8EC0000 2C000002
	ds_read_b64 v[46:47], v2 offset:256                        // 0000000064B4: D8EC0100 2E000002
	ds_read_b64 v[48:49], v2 offset:1024                       // 0000000064BC: D8EC0400 30000002
	ds_read_b64 v[50:51], v2 offset:1280                       // 0000000064C4: D8EC0500 32000002
	ds_read_b64 v[52:53], v2 offset:2048                       // 0000000064CC: D8EC0800 34000002
	ds_read_b64 v[54:55], v2 offset:2304                       // 0000000064D4: D8EC0900 36000002
	ds_read_b64 v[56:57], v2 offset:3072                       // 0000000064DC: D8EC0C00 38000002
	ds_read_b64 v[58:59], v2 offset:3328                       // 0000000064E4: D8EC0D00 3A000002
	s_waitcnt lgkmcnt(0)                                       // 0000000064EC: BF8CC07F
	s_barrier                                                  // 0000000064F0: BF8A0000
	v_lshrrev_b32_e32 v2, 5, v0                                // 0000000064F4: 20040085
	v_lshlrev_b32_e32 v3, 6, v2                                // 0000000064F8: 24060486
	v_and_b32_e32 v2, 31, v0                                   // 0000000064FC: 2604009F
	v_lshrrev_b32_e32 v4, 4, v2                                // 000000006500: 20080484
	v_add_u32_e32 v3, v4, v3                                   // 000000006504: 68060704
	v_and_b32_e32 v2, 15, v0                                   // 000000006508: 2604008F
	v_lshlrev_b32_e32 v2, 1, v2                                // 00000000650C: 24040481
	v_add_u32_e32 v3, v2, v3                                   // 000000006510: 68060702
	v_lshlrev_b32_e32 v2, 2, v3                                // 000000006514: 24040682
	s_mov_b32 s60, 0                                           // 000000006518: BEBC0080
	s_lshr_b32 s61, s7, 1                                      // 00000000651C: 8F3D8107
	s_mul_i32 s61, s61, 0x200                                  // 000000006520: 923DFF3D 00000200
	s_add_u32 s60, s61, s60                                    // 000000006528: 803C3C3D
	s_and_b32 s61, s7, 1                                       // 00000000652C: 863D8107
	s_mul_i32 s61, s61, 0x80                                   // 000000006530: 923DFF3D 00000080
	s_add_u32 s60, s61, s60                                    // 000000006538: 803C3C3D
	v_add_u32_e64 v2, v2, s60                                  // 00000000653C: D1340002 00007902
	ds_write_b32 v2, v31                                       // 000000006544: D81A0000 00001F02
	ds_write_b32 v2, v33 offset:1024                           // 00000000654C: D81A0400 00002102
	ds_write_b32 v2, v32 offset:2048                           // 000000006554: D81A0800 00002002
	ds_write_b32 v2, v34 offset:3072                           // 00000000655C: D81A0C00 00002202
	s_waitcnt lgkmcnt(0)                                       // 000000006564: BF8CC07F
	s_barrier                                                  // 000000006568: BF8A0000
	v_and_b32_e32 v2, 31, v0                                   // 00000000656C: 2604009F
	v_lshrrev_b32_e32 v2, 4, v2                                // 000000006570: 20040484
	v_lshlrev_b32_e32 v3, 5, v2                                // 000000006574: 24060485
	v_lshrrev_b32_e32 v2, 5, v0                                // 000000006578: 20040085
	v_lshlrev_b32_e32 v2, 7, v2                                // 00000000657C: 24040487
	v_add_u32_e32 v3, v2, v3                                   // 000000006580: 68060702
	v_and_b32_e32 v2, 15, v0                                   // 000000006584: 2604008F
	v_lshlrev_b32_e32 v2, 1, v2                                // 000000006588: 24040481
	v_add_u32_e32 v3, v2, v3                                   // 00000000658C: 68060702
	v_lshlrev_b32_e32 v2, 2, v3                                // 000000006590: 24040682
	ds_read_b32 v31, v2                                        // 000000006594: D86C0000 1F000002
	ds_read_b32 v33, v2 offset:1024                            // 00000000659C: D86C0400 21000002
	ds_read_b32 v32, v2 offset:2048                            // 0000000065A4: D86C0800 20000002
	ds_read_b32 v34, v2 offset:3072                            // 0000000065AC: D86C0C00 22000002
	s_waitcnt lgkmcnt(0)                                       // 0000000065B4: BF8CC07F
	s_barrier                                                  // 0000000065B8: BF8A0000
	v_bfe_u32 v31, v31, 23, 8                                  // 0000000065BC: D1C8001F 02212F1F
	v_bfe_u32 v32, v32, 23, 8                                  // 0000000065C4: D1C80020 02212F20
	v_bfe_u32 v33, v33, 23, 8                                  // 0000000065CC: D1C80021 02212F21
	v_bfe_u32 v34, v34, 23, 8                                  // 0000000065D4: D1C80022 02212F22
	v_mov_b32_e32 v2, 0                                        // 0000000065DC: 7E040280
	v_lshlrev_b32_e32 v31, 0, v31                              // 0000000065E0: 243E3E80
	v_or_b32_e32 v2, v2, v31                                   // 0000000065E4: 28043F02
	v_lshlrev_b32_e32 v32, 8, v32                              // 0000000065E8: 24404088
	v_or_b32_e32 v2, v2, v32                                   // 0000000065EC: 28044102
	v_lshlrev_b32_e32 v33, 16, v33                             // 0000000065F0: 24424290
	v_or_b32_e32 v2, v2, v33                                   // 0000000065F4: 28044302
	v_lshlrev_b32_e32 v34, 24, v34                             // 0000000065F8: 24444498
	v_or_b32_e32 v2, v2, v34                                   // 0000000065FC: 28044502
	v_mov_b32_e32 v31, v2                                      // 000000006600: 7E3E0302
	s_add_u32 s12, s56, s12                                    // 000000006604: 800C0C38
	s_addc_u32 s13, 0, s13                                     // 000000006608: 820D0D80
	s_add_u32 s16, s79, s16                                    // 00000000660C: 8010104F
	s_addc_u32 s17, 0, s17                                     // 000000006610: 82111180
	s_waitcnt lgkmcnt(0)                                       // 000000006614: BF8CC07F
	s_barrier                                                  // 000000006618: BF8A0000
	v_mov_b32_e32 v108, 0                                      // 00000000661C: 7ED80280
	v_mov_b32_e32 v140, 0                                      // 000000006620: 7F180280
	v_mov_b32_e32 v109, 0                                      // 000000006624: 7EDA0280
	v_mov_b32_e32 v141, 0                                      // 000000006628: 7F1A0280
	v_mov_b32_e32 v110, 0                                      // 00000000662C: 7EDC0280
	v_mov_b32_e32 v142, 0                                      // 000000006630: 7F1C0280
	v_mov_b32_e32 v111, 0                                      // 000000006634: 7EDE0280
	v_mov_b32_e32 v143, 0                                      // 000000006638: 7F1E0280
	v_mov_b32_e32 v112, 0                                      // 00000000663C: 7EE00280
	v_mov_b32_e32 v144, 0                                      // 000000006640: 7F200280
	v_mov_b32_e32 v113, 0                                      // 000000006644: 7EE20280
	v_mov_b32_e32 v145, 0                                      // 000000006648: 7F220280
	v_mov_b32_e32 v114, 0                                      // 00000000664C: 7EE40280
	v_mov_b32_e32 v146, 0                                      // 000000006650: 7F240280
	v_mov_b32_e32 v115, 0                                      // 000000006654: 7EE60280
	v_mov_b32_e32 v147, 0                                      // 000000006658: 7F260280
	v_mov_b32_e32 v116, 0                                      // 00000000665C: 7EE80280
	v_mov_b32_e32 v148, 0                                      // 000000006660: 7F280280
	v_mov_b32_e32 v117, 0                                      // 000000006664: 7EEA0280
	v_mov_b32_e32 v149, 0                                      // 000000006668: 7F2A0280
	v_mov_b32_e32 v118, 0                                      // 00000000666C: 7EEC0280
	v_mov_b32_e32 v150, 0                                      // 000000006670: 7F2C0280
	v_mov_b32_e32 v119, 0                                      // 000000006674: 7EEE0280
	v_mov_b32_e32 v151, 0                                      // 000000006678: 7F2E0280
	v_mov_b32_e32 v120, 0                                      // 00000000667C: 7EF00280
	v_mov_b32_e32 v152, 0                                      // 000000006680: 7F300280
	v_mov_b32_e32 v121, 0                                      // 000000006684: 7EF20280
	v_mov_b32_e32 v153, 0                                      // 000000006688: 7F320280
	v_mov_b32_e32 v122, 0                                      // 00000000668C: 7EF40280
	v_mov_b32_e32 v154, 0                                      // 000000006690: 7F340280
	v_mov_b32_e32 v123, 0                                      // 000000006694: 7EF60280
	v_mov_b32_e32 v155, 0                                      // 000000006698: 7F360280
	ds_write_b64 v8, v[108:109]                                // 00000000669C: D89A0000 00006C08
	ds_write_b64 v8, v[110:111] offset:8704                    // 0000000066A4: D89A2200 00006E08
	ds_write_b64 v8, v[112:113] offset:544                     // 0000000066AC: D89A0220 00007008
	ds_write_b64 v8, v[114:115] offset:9248                    // 0000000066B4: D89A2420 00007208
	ds_write_b64 v8, v[116:117] offset:4352                    // 0000000066BC: D89A1100 00007408
	ds_write_b64 v8, v[118:119] offset:13056                   // 0000000066C4: D89A3300 00007608
	ds_write_b64 v8, v[120:121] offset:4896                    // 0000000066CC: D89A1320 00007808
	ds_write_b64 v8, v[122:123] offset:13600                   // 0000000066D4: D89A3520 00007A08
	s_mov_b32 s80, 0                                           // 0000000066DC: BED00080
	s_waitcnt vmcnt(0) expcnt(0) lgkmcnt(0)                    // 0000000066E0: BF8C0000

00000000000066e4 <label_0E39>:
	s_waitcnt vmcnt(22) lgkmcnt(0)                             // 0000000066E4: BF8C4076
	s_barrier                                                  // 0000000066E8: BF8A0000
	v_mfma_scale_f32_16x16x128_f8f6f4 v[108:111], a[0:3], v[44:47], 0, v21, v31 op_sel_hi:[0,0,0] cbsz:4 blgp:4// 0000000066EC: D3AC6000 00023F15 D3AD0C6C 8A025900
	buffer_load_dwordx4 a[32:35], v40, s[12:15], 0 offen       // 0000000066FC: E05C1000 80832028
	v_mfma_scale_f32_16x16x128_f8f6f4 v[112:115], a[0:3], v[52:55], 0, v21, v31 op_sel_hi:[0,0,0] cbsz:4 blgp:4// 000000006704: D3AC7000 00023F15 D3AD0C70 8A026900
	ds_read_b32 v76, v9                                        // 000000006714: D86C0000 4C000009
	ds_read_b32 v77, v9 offset:4352                            // 00000000671C: D86C1100 4D000009
	ds_read_b32 v78, v9 offset:8                               // 000000006724: D86C0008 4E000009
	ds_read_b32 v79, v9 offset:4360                            // 00000000672C: D86C1108 4F000009
	v_mfma_scale_f32_16x16x128_f8f6f4 v[116:119], a[4:7], v[44:47], 0, v21, v31 op_sel_hi:[0,0,0] cbsz:4 blgp:4// 000000006734: D3AC6800 00023F15 D3AD0C74 8A025904
	buffer_load_dwordx4 a[36:39], v41, s[12:15], 0 offen       // 000000006744: E05C1000 80832429
	buffer_load_dword v23, v10, s[16:19], 0 offen              // 00000000674C: E0501000 8004170A
	buffer_load_dword v24, v11, s[16:19], 0 offen              // 000000006754: E0501000 8004180B
	v_mfma_scale_f32_16x16x128_f8f6f4 v[120:123], a[4:7], v[52:55], 0, v21, v31 op_sel_hi:[0,0,0] cbsz:4 blgp:4// 00000000675C: D3AC7800 00023F15 D3AD0C78 8A026904
	ds_read_b32 v80, v9 offset:32                              // 00000000676C: D86C0020 50000009
	ds_read_b32 v81, v9 offset:4384                            // 000000006774: D86C1120 51000009
	ds_read_b32 v82, v9 offset:40                              // 00000000677C: D86C0028 52000009
	ds_read_b32 v83, v9 offset:4392                            // 000000006784: D86C1128 53000009
	s_waitcnt vmcnt(24)                                        // 00000000678C: BF8C4F78
	v_mfma_scale_f32_16x16x128_f8f6f4 v[124:127], a[8:11], v[44:47], 0, v22, v31 op_sel_hi:[0,0,0] cbsz:4 blgp:4// 000000006790: D3AC6000 00023F16 D3AD0C7C 8A025908
	buffer_load_dwordx4 a[40:43], v42, s[12:15], 0 offen       // 0000000067A0: E05C1000 8083282A
	v_mfma_scale_f32_16x16x128_f8f6f4 v[128:131], a[8:11], v[52:55], 0, v22, v31 op_sel_hi:[0,0,0] cbsz:4 blgp:4// 0000000067A8: D3AC7000 00023F16 D3AD0C80 8A026908
	ds_read_b32 v84, v9 offset:8704                            // 0000000067B8: D86C2200 54000009
	ds_read_b32 v85, v9 offset:13056                           // 0000000067C0: D86C3300 55000009
	ds_read_b32 v86, v9 offset:8712                            // 0000000067C8: D86C2208 56000009
	ds_read_b32 v87, v9 offset:13064                           // 0000000067D0: D86C3308 57000009
	v_mfma_scale_f32_16x16x128_f8f6f4 v[132:135], a[12:15], v[44:47], 0, v22, v31 op_sel_hi:[0,0,0] cbsz:4 blgp:4// 0000000067D8: D3AC6800 00023F16 D3AD0C84 8A02590C
	buffer_load_dwordx4 a[44:47], v43, s[12:15], 0 offen       // 0000000067E8: E05C1000 80832C2B
	v_mfma_scale_f32_16x16x128_f8f6f4 v[136:139], a[12:15], v[52:55], 0, v22, v31 op_sel_hi:[0,0,0] cbsz:4 blgp:4// 0000000067F0: D3AC7800 00023F16 D3AD0C88 8A02690C
	ds_read_b32 v88, v9 offset:8736                            // 000000006800: D86C2220 58000009
	ds_read_b32 v89, v9 offset:13088                           // 000000006808: D86C3320 59000009
	ds_read_b32 v90, v9 offset:8744                            // 000000006810: D86C2228 5A000009
	ds_read_b32 v91, v9 offset:13096                           // 000000006818: D86C3328 5B000009
	s_waitcnt vmcnt(24)                                        // 000000006820: BF8C4F78
	v_mfma_scale_f32_16x16x128_f8f6f4 v[108:111], a[16:19], v[48:51], v[108:111], v21, v31 op_sel_hi:[0,0,0] cbsz:4 blgp:4// 000000006824: D3AC6000 18023F15 D3AD0C6C 8DB26110
	buffer_load_dwordx4 a[48:51], v40, s[12:15], 0 offen offset:1024// 000000006834: E05C1400 80833028
	v_mfma_scale_f32_16x16x128_f8f6f4 v[112:115], a[16:19], v[56:59], v[112:115], v21, v31 op_sel_hi:[0,0,0] cbsz:4 blgp:4// 00000000683C: D3AC7000 18023F15 D3AD0C70 8DC27110
	ds_write_b64 v8, v[140:141] offset:17408                   // 00000000684C: D89A4400 00008C08
	ds_write_b64 v8, v[142:143] offset:26112                   // 000000006854: D89A6600 00008E08
	v_mfma_scale_f32_16x16x128_f8f6f4 v[116:119], a[20:23], v[48:51], v[116:119], v21, v31 op_sel_hi:[0,0,0] cbsz:4 blgp:4// 00000000685C: D3AC6800 18023F15 D3AD0C74 8DD26114
	buffer_load_dwordx4 a[52:55], v41, s[12:15], 0 offen offset:1024// 00000000686C: E05C1400 80833429
	v_mfma_scale_f32_16x16x128_f8f6f4 v[120:123], a[20:23], v[56:59], v[120:123], v21, v31 op_sel_hi:[0,0,0] cbsz:4 blgp:4// 000000006874: D3AC7800 18023F15 D3AD0C78 8DE27114
	ds_write_b64 v8, v[144:145] offset:17952                   // 000000006884: D89A4620 00009008
	ds_write_b64 v8, v[146:147] offset:26656                   // 00000000688C: D89A6820 00009208
	s_waitcnt vmcnt(24)                                        // 000000006894: BF8C4F78
	v_mfma_scale_f32_16x16x128_f8f6f4 v[124:127], a[24:27], v[48:51], v[124:127], v22, v31 op_sel_hi:[0,0,0] cbsz:4 blgp:4// 000000006898: D3AC6000 18023F16 D3AD0C7C 8DF26118
	buffer_load_dwordx4 a[56:59], v42, s[12:15], 0 offen offset:1024// 0000000068A8: E05C1400 8083382A
	v_mfma_scale_f32_16x16x128_f8f6f4 v[128:131], a[24:27], v[56:59], v[128:131], v22, v31 op_sel_hi:[0,0,0] cbsz:4 blgp:4// 0000000068B0: D3AC7000 18023F16 D3AD0C80 8E027118
	ds_write_b64 v8, v[148:149] offset:21760                   // 0000000068C0: D89A5500 00009408
	ds_write_b64 v8, v[150:151] offset:30464                   // 0000000068C8: D89A7700 00009608
	v_mfma_scale_f32_16x16x128_f8f6f4 v[132:135], a[28:31], v[48:51], v[132:135], v22, v31 op_sel_hi:[0,0,0] cbsz:4 blgp:4// 0000000068D0: D3AC6800 18023F16 D3AD0C84 8E12611C
	buffer_load_dwordx4 a[60:63], v43, s[12:15], 0 offen offset:1024// 0000000068E0: E05C1400 80833C2B
	v_mfma_scale_f32_16x16x128_f8f6f4 v[136:139], a[28:31], v[56:59], v[136:139], v22, v31 op_sel_hi:[0,0,0] cbsz:4 blgp:4// 0000000068E8: D3AC7800 18023F16 D3AD0C88 8E22711C
	ds_write_b64 v8, v[152:153] offset:22304                   // 0000000068F8: D89A5720 00009808
	ds_write_b64 v8, v[154:155] offset:31008                   // 000000006900: D89A7920 00009A08
	s_add_u32 s60, 0x200, s80                                  // 000000006908: 803C50FF 00000200
	s_cmp_lt_u32 s60, s81                                      // 000000006910: BF0A513C
	s_cselect_b32 s56, s56, 0                                  // 000000006914: 85388038
	s_cselect_b32 s78, s78, 0                                  // 000000006918: 854E804E
	s_cselect_b32 s79, s79, 0                                  // 00000000691C: 854F804F
	s_add_u32 s12, s56, s12                                    // 000000006920: 800C0C38
	s_addc_u32 s13, 0, s13                                     // 000000006924: 820D0D80
	s_add_u32 s16, s79, s16                                    // 000000006928: 8010104F
	s_addc_u32 s17, 0, s17                                     // 00000000692C: 82111180
	v_mov_b32_e32 v2, v29                                      // 000000006930: 7E04031D
	v_mov_b32_e32 v3, v29                                      // 000000006934: 7E06031D
	v_pk_mul_f32 v[108:109], v[2:3], v[108:109]                // 000000006938: D3B1406C 1802D902
	v_pk_mul_f32 v[110:111], v[2:3], v[110:111]                // 000000006940: D3B1406E 1802DD02
	v_pk_mul_f32 v[116:117], v[2:3], v[116:117]                // 000000006948: D3B14074 1802E902
	v_pk_mul_f32 v[118:119], v[2:3], v[118:119]                // 000000006950: D3B14076 1802ED02
	v_pk_mul_f32 v[124:125], v[2:3], v[124:125]                // 000000006958: D3B1407C 1802F902
	v_pk_mul_f32 v[126:127], v[2:3], v[126:127]                // 000000006960: D3B1407E 1802FD02
	v_pk_mul_f32 v[132:133], v[2:3], v[132:133]                // 000000006968: D3B14084 18030902
	v_pk_mul_f32 v[134:135], v[2:3], v[134:135]                // 000000006970: D3B14086 18030D02
	v_mov_b32_e32 v2, v30                                      // 000000006978: 7E04031E
	v_mov_b32_e32 v3, v30                                      // 00000000697C: 7E06031E
	v_pk_mul_f32 v[112:113], v[2:3], v[112:113]                // 000000006980: D3B14070 1802E102
	v_pk_mul_f32 v[114:115], v[2:3], v[114:115]                // 000000006988: D3B14072 1802E502
	v_pk_mul_f32 v[120:121], v[2:3], v[120:121]                // 000000006990: D3B14078 1802F102
	v_pk_mul_f32 v[122:123], v[2:3], v[122:123]                // 000000006998: D3B1407A 1802F502
	v_pk_mul_f32 v[128:129], v[2:3], v[128:129]                // 0000000069A0: D3B14080 18030102
	v_pk_mul_f32 v[130:131], v[2:3], v[130:131]                // 0000000069A8: D3B14082 18030502
	v_pk_mul_f32 v[136:137], v[2:3], v[136:137]                // 0000000069B0: D3B14088 18031102
	v_pk_mul_f32 v[138:139], v[2:3], v[138:139]                // 0000000069B8: D3B1408A 18031502
	v_cvt_pkrtz_f16_f32 v108, v108, v109                       // 0000000069C0: D296006C 0002DB6C
	v_cvt_pkrtz_f16_f32 v109, v110, v111                       // 0000000069C8: D296006D 0002DF6E
	v_cvt_pkrtz_f16_f32 v110, v112, v113                       // 0000000069D0: D296006E 0002E370
	v_cvt_pkrtz_f16_f32 v111, v114, v115                       // 0000000069D8: D296006F 0002E772
	v_cvt_pkrtz_f16_f32 v112, v116, v117                       // 0000000069E0: D2960070 0002EB74
	v_cvt_pkrtz_f16_f32 v113, v118, v119                       // 0000000069E8: D2960071 0002EF76
	v_cvt_pkrtz_f16_f32 v114, v120, v121                       // 0000000069F0: D2960072 0002F378
	v_cvt_pkrtz_f16_f32 v115, v122, v123                       // 0000000069F8: D2960073 0002F77A
	v_cvt_pkrtz_f16_f32 v116, v124, v125                       // 000000006A00: D2960074 0002FB7C
	v_cvt_pkrtz_f16_f32 v117, v126, v127                       // 000000006A08: D2960075 0002FF7E
	v_cvt_pkrtz_f16_f32 v118, v128, v129                       // 000000006A10: D2960076 00030380
	v_cvt_pkrtz_f16_f32 v119, v130, v131                       // 000000006A18: D2960077 00030782
	v_cvt_pkrtz_f16_f32 v120, v132, v133                       // 000000006A20: D2960078 00030B84
	v_cvt_pkrtz_f16_f32 v121, v134, v135                       // 000000006A28: D2960079 00030F86
	v_cvt_pkrtz_f16_f32 v122, v136, v137                       // 000000006A30: D296007A 00031388
	v_cvt_pkrtz_f16_f32 v123, v138, v139                       // 000000006A38: D296007B 0003178A
	s_cmp_ge_u32 s80, 0x200                                    // 000000006A40: BF09FF50 00000200
	s_cselect_b32 s59, 0x200, s59                              // 000000006A48: 853B3BFF 00000200
	s_mov_b64 exec, s[20:21]                                   // 000000006A50: BEFE0114
	global_atomic_pk_add_f16 v92, v76, s[8:9]                  // 000000006A54: DD388000 00084C5C
	s_mov_b64 exec, s[36:37]                                   // 000000006A5C: BEFE0124
	s_mov_b64 exec, s[20:21]                                   // 000000006A60: BEFE0114
	global_atomic_pk_add_f16 v92, v77, s[8:9] offset:256       // 000000006A64: DD388100 00084D5C
	s_mov_b64 exec, s[36:37]                                   // 000000006A6C: BEFE0124
	s_mov_b64 exec, s[22:23]                                   // 000000006A70: BEFE0116
	global_atomic_pk_add_f16 v94, v78, s[8:9]                  // 000000006A74: DD388000 00084E5E
	s_mov_b64 exec, s[36:37]                                   // 000000006A7C: BEFE0124
	s_mov_b64 exec, s[22:23]                                   // 000000006A80: BEFE0116
	global_atomic_pk_add_f16 v94, v79, s[8:9] offset:256       // 000000006A84: DD388100 00084F5E
	s_mov_b64 exec, s[36:37]                                   // 000000006A8C: BEFE0124
	s_mov_b64 exec, s[24:25]                                   // 000000006A90: BEFE0118
	global_atomic_pk_add_f16 v96, v80, s[8:9]                  // 000000006A94: DD388000 00085060
	s_mov_b64 exec, s[36:37]                                   // 000000006A9C: BEFE0124
	s_mov_b64 exec, s[24:25]                                   // 000000006AA0: BEFE0118
	global_atomic_pk_add_f16 v96, v81, s[8:9] offset:256       // 000000006AA4: DD388100 00085160
	s_mov_b64 exec, s[36:37]                                   // 000000006AAC: BEFE0124
	s_mov_b64 exec, s[26:27]                                   // 000000006AB0: BEFE011A
	global_atomic_pk_add_f16 v98, v82, s[8:9]                  // 000000006AB4: DD388000 00085262
	s_mov_b64 exec, s[36:37]                                   // 000000006ABC: BEFE0124
	s_mov_b64 exec, s[26:27]                                   // 000000006AC0: BEFE011A
	global_atomic_pk_add_f16 v98, v83, s[8:9] offset:256       // 000000006AC4: DD388100 00085362
	s_mov_b64 exec, s[36:37]                                   // 000000006ACC: BEFE0124
	s_mov_b64 exec, s[28:29]                                   // 000000006AD0: BEFE011C
	global_atomic_pk_add_f16 v100, v84, s[8:9]                 // 000000006AD4: DD388000 00085464
	s_mov_b64 exec, s[36:37]                                   // 000000006ADC: BEFE0124
	s_mov_b64 exec, s[28:29]                                   // 000000006AE0: BEFE011C
	global_atomic_pk_add_f16 v100, v85, s[8:9] offset:256      // 000000006AE4: DD388100 00085564
	s_mov_b64 exec, s[36:37]                                   // 000000006AEC: BEFE0124
	s_mov_b64 exec, s[30:31]                                   // 000000006AF0: BEFE011E
	global_atomic_pk_add_f16 v102, v86, s[8:9]                 // 000000006AF4: DD388000 00085666
	s_mov_b64 exec, s[36:37]                                   // 000000006AFC: BEFE0124
	s_mov_b64 exec, s[30:31]                                   // 000000006B00: BEFE011E
	global_atomic_pk_add_f16 v102, v87, s[8:9] offset:256      // 000000006B04: DD388100 00085766
	s_mov_b64 exec, s[36:37]                                   // 000000006B0C: BEFE0124
	s_mov_b64 exec, s[32:33]                                   // 000000006B10: BEFE0120
	global_atomic_pk_add_f16 v104, v88, s[8:9]                 // 000000006B14: DD388000 00085868
	s_mov_b64 exec, s[36:37]                                   // 000000006B1C: BEFE0124
	s_mov_b64 exec, s[32:33]                                   // 000000006B20: BEFE0120
	global_atomic_pk_add_f16 v104, v89, s[8:9] offset:256      // 000000006B24: DD388100 00085968
	s_mov_b64 exec, s[36:37]                                   // 000000006B2C: BEFE0124
	s_mov_b64 exec, s[34:35]                                   // 000000006B30: BEFE0122
	global_atomic_pk_add_f16 v106, v90, s[8:9]                 // 000000006B34: DD388000 00085A6A
	s_mov_b64 exec, s[36:37]                                   // 000000006B3C: BEFE0124
	s_mov_b64 exec, s[34:35]                                   // 000000006B40: BEFE0122
	global_atomic_pk_add_f16 v106, v91, s[8:9] offset:256      // 000000006B44: DD388100 00085B6A
	s_mov_b64 exec, s[36:37]                                   // 000000006B4C: BEFE0124
	s_add_u32 s8, s59, s8                                      // 000000006B50: 8008083B
	s_addc_u32 s9, 0, s9                                       // 000000006B54: 82090980
	s_addk_i32 s80, 0x100                                      // 000000006B58: B7500100
	s_cmp_lt_i32 s80, s81                                      // 000000006B5C: BF045150
	s_cbranch_scc0 label_097D                                  // 000000006B60: BF84FA24
	s_waitcnt vmcnt(22) lgkmcnt(0)                             // 000000006B64: BF8C4076
	s_barrier                                                  // 000000006B68: BF8A0000
	v_mfma_scale_f32_16x16x128_f8f6f4 v[140:143], a[32:35], v[44:47], 0, v23, v31 op_sel_hi:[0,0,0] cbsz:4 blgp:4// 000000006B6C: D3AC6000 00023F17 D3AD0C8C 8A025920
	buffer_load_dwordx4 a[0:3], v40, s[12:15], 0 offen         // 000000006B7C: E05C1000 80830028
	v_mfma_scale_f32_16x16x128_f8f6f4 v[144:147], a[32:35], v[52:55], 0, v23, v31 op_sel_hi:[0,0,0] cbsz:4 blgp:4// 000000006B84: D3AC7000 00023F17 D3AD0C90 8A026920
	ds_read_b32 v76, v9 offset:17408                           // 000000006B94: D86C4400 4C000009
	ds_read_b32 v77, v9 offset:21760                           // 000000006B9C: D86C5500 4D000009
	ds_read_b32 v78, v9 offset:17416                           // 000000006BA4: D86C4408 4E000009
	ds_read_b32 v79, v9 offset:21768                           // 000000006BAC: D86C5508 4F000009
	v_mfma_scale_f32_16x16x128_f8f6f4 v[148:151], a[36:39], v[44:47], 0, v23, v31 op_sel_hi:[0,0,0] cbsz:4 blgp:4// 000000006BB4: D3AC6800 00023F17 D3AD0C94 8A025924
	buffer_load_dwordx4 a[4:7], v41, s[12:15], 0 offen         // 000000006BC4: E05C1000 80830429
	buffer_load_dword v21, v10, s[16:19], 0 offen              // 000000006BCC: E0501000 8004150A
	buffer_load_dword v22, v11, s[16:19], 0 offen              // 000000006BD4: E0501000 8004160B
	v_mfma_scale_f32_16x16x128_f8f6f4 v[152:155], a[36:39], v[52:55], 0, v23, v31 op_sel_hi:[0,0,0] cbsz:4 blgp:4// 000000006BDC: D3AC7800 00023F17 D3AD0C98 8A026924
	ds_read_b32 v80, v9 offset:17440                           // 000000006BEC: D86C4420 50000009
	ds_read_b32 v81, v9 offset:21792                           // 000000006BF4: D86C5520 51000009
	ds_read_b32 v82, v9 offset:17448                           // 000000006BFC: D86C4428 52000009
	ds_read_b32 v83, v9 offset:21800                           // 000000006C04: D86C5528 53000009
	s_waitcnt vmcnt(24)                                        // 000000006C0C: BF8C4F78
	v_mfma_scale_f32_16x16x128_f8f6f4 v[156:159], a[40:43], v[44:47], 0, v24, v31 op_sel_hi:[0,0,0] cbsz:4 blgp:4// 000000006C10: D3AC6000 00023F18 D3AD0C9C 8A025928
	buffer_load_dwordx4 a[8:11], v42, s[12:15], 0 offen        // 000000006C20: E05C1000 8083082A
	v_mfma_scale_f32_16x16x128_f8f6f4 v[160:163], a[40:43], v[52:55], 0, v24, v31 op_sel_hi:[0,0,0] cbsz:4 blgp:4// 000000006C28: D3AC7000 00023F18 D3AD0CA0 8A026928
	ds_read_b32 v84, v9 offset:26112                           // 000000006C38: D86C6600 54000009
	ds_read_b32 v85, v9 offset:30464                           // 000000006C40: D86C7700 55000009
	ds_read_b32 v86, v9 offset:26120                           // 000000006C48: D86C6608 56000009
	ds_read_b32 v87, v9 offset:30472                           // 000000006C50: D86C7708 57000009
	v_mfma_scale_f32_16x16x128_f8f6f4 v[164:167], a[44:47], v[44:47], 0, v24, v31 op_sel_hi:[0,0,0] cbsz:4 blgp:4// 000000006C58: D3AC6800 00023F18 D3AD0CA4 8A02592C
	buffer_load_dwordx4 a[12:15], v43, s[12:15], 0 offen       // 000000006C68: E05C1000 80830C2B
	v_mfma_scale_f32_16x16x128_f8f6f4 v[168:171], a[44:47], v[52:55], 0, v24, v31 op_sel_hi:[0,0,0] cbsz:4 blgp:4// 000000006C70: D3AC7800 00023F18 D3AD0CA8 8A02692C
	ds_read_b32 v88, v9 offset:26144                           // 000000006C80: D86C6620 58000009
	ds_read_b32 v89, v9 offset:30496                           // 000000006C88: D86C7720 59000009
	ds_read_b32 v90, v9 offset:26152                           // 000000006C90: D86C6628 5A000009
	ds_read_b32 v91, v9 offset:30504                           // 000000006C98: D86C7728 5B000009
	s_waitcnt vmcnt(24)                                        // 000000006CA0: BF8C4F78
	v_mfma_scale_f32_16x16x128_f8f6f4 v[140:143], a[48:51], v[48:51], v[140:143], v23, v31 op_sel_hi:[0,0,0] cbsz:4 blgp:4// 000000006CA4: D3AC6000 18023F17 D3AD0C8C 8E326130
	buffer_load_dwordx4 a[16:19], v40, s[12:15], 0 offen offset:1024// 000000006CB4: E05C1400 80831028
	v_mfma_scale_f32_16x16x128_f8f6f4 v[144:147], a[48:51], v[56:59], v[144:147], v23, v31 op_sel_hi:[0,0,0] cbsz:4 blgp:4// 000000006CBC: D3AC7000 18023F17 D3AD0C90 8E427130
	ds_write_b64 v8, v[108:109]                                // 000000006CCC: D89A0000 00006C08
	ds_write_b64 v8, v[110:111] offset:8704                    // 000000006CD4: D89A2200 00006E08
	v_mfma_scale_f32_16x16x128_f8f6f4 v[148:151], a[52:55], v[48:51], v[148:151], v23, v31 op_sel_hi:[0,0,0] cbsz:4 blgp:4// 000000006CDC: D3AC6800 18023F17 D3AD0C94 8E526134
	buffer_load_dwordx4 a[20:23], v41, s[12:15], 0 offen offset:1024// 000000006CEC: E05C1400 80831429
	v_mfma_scale_f32_16x16x128_f8f6f4 v[152:155], a[52:55], v[56:59], v[152:155], v23, v31 op_sel_hi:[0,0,0] cbsz:4 blgp:4// 000000006CF4: D3AC7800 18023F17 D3AD0C98 8E627134
	ds_write_b64 v8, v[112:113] offset:544                     // 000000006D04: D89A0220 00007008
	ds_write_b64 v8, v[114:115] offset:9248                    // 000000006D0C: D89A2420 00007208
	s_waitcnt vmcnt(24)                                        // 000000006D14: BF8C4F78
	v_mfma_scale_f32_16x16x128_f8f6f4 v[156:159], a[56:59], v[48:51], v[156:159], v24, v31 op_sel_hi:[0,0,0] cbsz:4 blgp:4// 000000006D18: D3AC6000 18023F18 D3AD0C9C 8E726138
	buffer_load_dwordx4 a[24:27], v42, s[12:15], 0 offen offset:1024// 000000006D28: E05C1400 8083182A
	v_mfma_scale_f32_16x16x128_f8f6f4 v[160:163], a[56:59], v[56:59], v[160:163], v24, v31 op_sel_hi:[0,0,0] cbsz:4 blgp:4// 000000006D30: D3AC7000 18023F18 D3AD0CA0 8E827138
	ds_write_b64 v8, v[116:117] offset:4352                    // 000000006D40: D89A1100 00007408
	ds_write_b64 v8, v[118:119] offset:13056                   // 000000006D48: D89A3300 00007608
	v_mfma_scale_f32_16x16x128_f8f6f4 v[164:167], a[60:63], v[48:51], v[164:167], v24, v31 op_sel_hi:[0,0,0] cbsz:4 blgp:4// 000000006D50: D3AC6800 18023F18 D3AD0CA4 8E92613C
	buffer_load_dwordx4 a[28:31], v43, s[12:15], 0 offen offset:1024// 000000006D60: E05C1400 80831C2B
	v_mfma_scale_f32_16x16x128_f8f6f4 v[168:171], a[60:63], v[56:59], v[168:171], v24, v31 op_sel_hi:[0,0,0] cbsz:4 blgp:4// 000000006D68: D3AC7800 18023F18 D3AD0CA8 8EA2713C
	ds_write_b64 v8, v[120:121] offset:4896                    // 000000006D78: D89A1320 00007808
	ds_write_b64 v8, v[122:123] offset:13600                   // 000000006D80: D89A3520 00007A08
	s_add_u32 s60, 0x200, s80                                  // 000000006D88: 803C50FF 00000200
	s_cmp_lt_u32 s60, s81                                      // 000000006D90: BF0A513C
	s_cselect_b32 s56, s56, 0                                  // 000000006D94: 85388038
	s_cselect_b32 s78, s78, 0                                  // 000000006D98: 854E804E
	s_cselect_b32 s79, s79, 0                                  // 000000006D9C: 854F804F
	s_add_u32 s12, s56, s12                                    // 000000006DA0: 800C0C38
	s_addc_u32 s13, 0, s13                                     // 000000006DA4: 820D0D80
	s_add_u32 s16, s79, s16                                    // 000000006DA8: 8010104F
	s_addc_u32 s17, 0, s17                                     // 000000006DAC: 82111180
	v_mov_b32_e32 v2, v29                                      // 000000006DB0: 7E04031D
	v_mov_b32_e32 v3, v29                                      // 000000006DB4: 7E06031D
	v_pk_mul_f32 v[140:141], v[2:3], v[140:141]                // 000000006DB8: D3B1408C 18031902
	v_pk_mul_f32 v[142:143], v[2:3], v[142:143]                // 000000006DC0: D3B1408E 18031D02
	v_pk_mul_f32 v[148:149], v[2:3], v[148:149]                // 000000006DC8: D3B14094 18032902
	v_pk_mul_f32 v[150:151], v[2:3], v[150:151]                // 000000006DD0: D3B14096 18032D02
	v_pk_mul_f32 v[156:157], v[2:3], v[156:157]                // 000000006DD8: D3B1409C 18033902
	v_pk_mul_f32 v[158:159], v[2:3], v[158:159]                // 000000006DE0: D3B1409E 18033D02
	v_pk_mul_f32 v[164:165], v[2:3], v[164:165]                // 000000006DE8: D3B140A4 18034902
	v_pk_mul_f32 v[166:167], v[2:3], v[166:167]                // 000000006DF0: D3B140A6 18034D02
	v_mov_b32_e32 v2, v30                                      // 000000006DF8: 7E04031E
	v_mov_b32_e32 v3, v30                                      // 000000006DFC: 7E06031E
	v_pk_mul_f32 v[144:145], v[2:3], v[144:145]                // 000000006E00: D3B14090 18032102
	v_pk_mul_f32 v[146:147], v[2:3], v[146:147]                // 000000006E08: D3B14092 18032502
	v_pk_mul_f32 v[152:153], v[2:3], v[152:153]                // 000000006E10: D3B14098 18033102
	v_pk_mul_f32 v[154:155], v[2:3], v[154:155]                // 000000006E18: D3B1409A 18033502
	v_pk_mul_f32 v[160:161], v[2:3], v[160:161]                // 000000006E20: D3B140A0 18034102
	v_pk_mul_f32 v[162:163], v[2:3], v[162:163]                // 000000006E28: D3B140A2 18034502
	v_pk_mul_f32 v[168:169], v[2:3], v[168:169]                // 000000006E30: D3B140A8 18035102
	v_pk_mul_f32 v[170:171], v[2:3], v[170:171]                // 000000006E38: D3B140AA 18035502
	v_cvt_pkrtz_f16_f32 v140, v140, v141                       // 000000006E40: D296008C 00031B8C
	v_cvt_pkrtz_f16_f32 v141, v142, v143                       // 000000006E48: D296008D 00031F8E
	v_cvt_pkrtz_f16_f32 v142, v144, v145                       // 000000006E50: D296008E 00032390
	v_cvt_pkrtz_f16_f32 v143, v146, v147                       // 000000006E58: D296008F 00032792
	v_cvt_pkrtz_f16_f32 v144, v148, v149                       // 000000006E60: D2960090 00032B94
	v_cvt_pkrtz_f16_f32 v145, v150, v151                       // 000000006E68: D2960091 00032F96
	v_cvt_pkrtz_f16_f32 v146, v152, v153                       // 000000006E70: D2960092 00033398
	v_cvt_pkrtz_f16_f32 v147, v154, v155                       // 000000006E78: D2960093 0003379A
	v_cvt_pkrtz_f16_f32 v148, v156, v157                       // 000000006E80: D2960094 00033B9C
	v_cvt_pkrtz_f16_f32 v149, v158, v159                       // 000000006E88: D2960095 00033F9E
	v_cvt_pkrtz_f16_f32 v150, v160, v161                       // 000000006E90: D2960096 000343A0
	v_cvt_pkrtz_f16_f32 v151, v162, v163                       // 000000006E98: D2960097 000347A2
	v_cvt_pkrtz_f16_f32 v152, v164, v165                       // 000000006EA0: D2960098 00034BA4
	v_cvt_pkrtz_f16_f32 v153, v166, v167                       // 000000006EA8: D2960099 00034FA6
	v_cvt_pkrtz_f16_f32 v154, v168, v169                       // 000000006EB0: D296009A 000353A8
	v_cvt_pkrtz_f16_f32 v155, v170, v171                       // 000000006EB8: D296009B 000357AA
	s_cmp_ge_u32 s80, 0x200                                    // 000000006EC0: BF09FF50 00000200
	s_cselect_b32 s59, 0x200, s59                              // 000000006EC8: 853B3BFF 00000200
	s_mov_b64 exec, s[20:21]                                   // 000000006ED0: BEFE0114
	global_atomic_pk_add_f16 v92, v76, s[8:9]                  // 000000006ED4: DD388000 00084C5C
	s_mov_b64 exec, s[36:37]                                   // 000000006EDC: BEFE0124
	s_mov_b64 exec, s[20:21]                                   // 000000006EE0: BEFE0114
	global_atomic_pk_add_f16 v92, v77, s[8:9] offset:256       // 000000006EE4: DD388100 00084D5C
	s_mov_b64 exec, s[36:37]                                   // 000000006EEC: BEFE0124
	s_mov_b64 exec, s[22:23]                                   // 000000006EF0: BEFE0116
	global_atomic_pk_add_f16 v94, v78, s[8:9]                  // 000000006EF4: DD388000 00084E5E
	s_mov_b64 exec, s[36:37]                                   // 000000006EFC: BEFE0124
	s_mov_b64 exec, s[22:23]                                   // 000000006F00: BEFE0116
	global_atomic_pk_add_f16 v94, v79, s[8:9] offset:256       // 000000006F04: DD388100 00084F5E
	s_mov_b64 exec, s[36:37]                                   // 000000006F0C: BEFE0124
	s_mov_b64 exec, s[24:25]                                   // 000000006F10: BEFE0118
	global_atomic_pk_add_f16 v96, v80, s[8:9]                  // 000000006F14: DD388000 00085060
	s_mov_b64 exec, s[36:37]                                   // 000000006F1C: BEFE0124
	s_mov_b64 exec, s[24:25]                                   // 000000006F20: BEFE0118
	global_atomic_pk_add_f16 v96, v81, s[8:9] offset:256       // 000000006F24: DD388100 00085160
	s_mov_b64 exec, s[36:37]                                   // 000000006F2C: BEFE0124
	s_mov_b64 exec, s[26:27]                                   // 000000006F30: BEFE011A
	global_atomic_pk_add_f16 v98, v82, s[8:9]                  // 000000006F34: DD388000 00085262
	s_mov_b64 exec, s[36:37]                                   // 000000006F3C: BEFE0124
	s_mov_b64 exec, s[26:27]                                   // 000000006F40: BEFE011A
	global_atomic_pk_add_f16 v98, v83, s[8:9] offset:256       // 000000006F44: DD388100 00085362
	s_mov_b64 exec, s[36:37]                                   // 000000006F4C: BEFE0124
	s_mov_b64 exec, s[28:29]                                   // 000000006F50: BEFE011C
	global_atomic_pk_add_f16 v100, v84, s[8:9]                 // 000000006F54: DD388000 00085464
	s_mov_b64 exec, s[36:37]                                   // 000000006F5C: BEFE0124
	s_mov_b64 exec, s[28:29]                                   // 000000006F60: BEFE011C
	global_atomic_pk_add_f16 v100, v85, s[8:9] offset:256      // 000000006F64: DD388100 00085564
	s_mov_b64 exec, s[36:37]                                   // 000000006F6C: BEFE0124
	s_mov_b64 exec, s[30:31]                                   // 000000006F70: BEFE011E
	global_atomic_pk_add_f16 v102, v86, s[8:9]                 // 000000006F74: DD388000 00085666
	s_mov_b64 exec, s[36:37]                                   // 000000006F7C: BEFE0124
	s_mov_b64 exec, s[30:31]                                   // 000000006F80: BEFE011E
	global_atomic_pk_add_f16 v102, v87, s[8:9] offset:256      // 000000006F84: DD388100 00085766
	s_mov_b64 exec, s[36:37]                                   // 000000006F8C: BEFE0124
	s_mov_b64 exec, s[32:33]                                   // 000000006F90: BEFE0120
	global_atomic_pk_add_f16 v104, v88, s[8:9]                 // 000000006F94: DD388000 00085868
	s_mov_b64 exec, s[36:37]                                   // 000000006F9C: BEFE0124
	s_mov_b64 exec, s[32:33]                                   // 000000006FA0: BEFE0120
	global_atomic_pk_add_f16 v104, v89, s[8:9] offset:256      // 000000006FA4: DD388100 00085968
	s_mov_b64 exec, s[36:37]                                   // 000000006FAC: BEFE0124
	s_mov_b64 exec, s[34:35]                                   // 000000006FB0: BEFE0122
	global_atomic_pk_add_f16 v106, v90, s[8:9]                 // 000000006FB4: DD388000 00085A6A
	s_mov_b64 exec, s[36:37]                                   // 000000006FBC: BEFE0124
	s_mov_b64 exec, s[34:35]                                   // 000000006FC0: BEFE0122
	global_atomic_pk_add_f16 v106, v91, s[8:9] offset:256      // 000000006FC4: DD388100 00085B6A
	s_mov_b64 exec, s[36:37]                                   // 000000006FCC: BEFE0124
	s_add_u32 s8, s59, s8                                      // 000000006FD0: 8008083B
	s_addc_u32 s9, 0, s9                                       // 000000006FD4: 82090980
	s_addk_i32 s80, 0x100                                      // 000000006FD8: B7500100
	s_cmp_lt_i32 s80, s81                                      // 000000006FDC: BF045150
	s_cbranch_scc0 label_097D                                  // 000000006FE0: BF84F904
	s_branch label_0E39                                        // 000000006FE4: BF82FDBF

0000000000006fe8 <label_107A>:
	s_cmp_ge_u32 s59, 0                                        // 000000006FE8: BF09803B
	s_cselect_b32 s59, 0x200, s59                              // 000000006FEC: 853B3BFF 00000200
	s_waitcnt lgkmcnt(0)                                       // 000000006FF4: BF8CC07F
	s_barrier                                                  // 000000006FF8: BF8A0000
	s_cmp_eq_u32 s64, 0x100                                    // 000000006FFC: BF06FF40 00000100
	s_cbranch_scc0 label_10F6                                  // 000000007004: BF840074
	ds_write_b64 v8, v[108:109]                                // 000000007008: D89A0000 00006C08
	ds_write_b64 v8, v[110:111] offset:8704                    // 000000007010: D89A2200 00006E08
	ds_write_b64 v8, v[112:113] offset:544                     // 000000007018: D89A0220 00007008
	ds_write_b64 v8, v[114:115] offset:9248                    // 000000007020: D89A2420 00007208
	ds_write_b64 v8, v[116:117] offset:4352                    // 000000007028: D89A1100 00007408
	ds_write_b64 v8, v[118:119] offset:13056                   // 000000007030: D89A3300 00007608
	ds_write_b64 v8, v[120:121] offset:4896                    // 000000007038: D89A1320 00007808
	ds_write_b64 v8, v[122:123] offset:13600                   // 000000007040: D89A3520 00007A08
	s_waitcnt lgkmcnt(0)                                       // 000000007048: BF8CC07F
	s_barrier                                                  // 00000000704C: BF8A0000
	ds_read_b32 v76, v9                                        // 000000007050: D86C0000 4C000009
	ds_read_b32 v77, v9 offset:4352                            // 000000007058: D86C1100 4D000009
	ds_read_b32 v78, v9 offset:8                               // 000000007060: D86C0008 4E000009
	ds_read_b32 v79, v9 offset:4360                            // 000000007068: D86C1108 4F000009
	ds_read_b32 v80, v9 offset:32                              // 000000007070: D86C0020 50000009
	ds_read_b32 v81, v9 offset:4384                            // 000000007078: D86C1120 51000009
	ds_read_b32 v82, v9 offset:40                              // 000000007080: D86C0028 52000009
	ds_read_b32 v83, v9 offset:4392                            // 000000007088: D86C1128 53000009
	ds_read_b32 v84, v9 offset:8704                            // 000000007090: D86C2200 54000009
	ds_read_b32 v85, v9 offset:13056                           // 000000007098: D86C3300 55000009
	ds_read_b32 v86, v9 offset:8712                            // 0000000070A0: D86C2208 56000009
	ds_read_b32 v87, v9 offset:13064                           // 0000000070A8: D86C3308 57000009
	ds_read_b32 v88, v9 offset:8736                            // 0000000070B0: D86C2220 58000009
	ds_read_b32 v89, v9 offset:13088                           // 0000000070B8: D86C3320 59000009
	ds_read_b32 v90, v9 offset:8744                            // 0000000070C0: D86C2228 5A000009
	ds_read_b32 v91, v9 offset:13096                           // 0000000070C8: D86C3328 5B000009
	s_waitcnt lgkmcnt(0)                                       // 0000000070D0: BF8CC07F
	s_mov_b64 exec, s[20:21]                                   // 0000000070D4: BEFE0114
	global_atomic_pk_add_f16 v92, v76, s[8:9]                  // 0000000070D8: DD388000 00084C5C
	s_mov_b64 exec, s[36:37]                                   // 0000000070E0: BEFE0124
	s_mov_b64 exec, s[20:21]                                   // 0000000070E4: BEFE0114
	global_atomic_pk_add_f16 v92, v77, s[8:9] offset:256       // 0000000070E8: DD388100 00084D5C
	s_mov_b64 exec, s[36:37]                                   // 0000000070F0: BEFE0124
	s_mov_b64 exec, s[22:23]                                   // 0000000070F4: BEFE0116
	global_atomic_pk_add_f16 v94, v78, s[8:9]                  // 0000000070F8: DD388000 00084E5E
	s_mov_b64 exec, s[36:37]                                   // 000000007100: BEFE0124
	s_mov_b64 exec, s[22:23]                                   // 000000007104: BEFE0116
	global_atomic_pk_add_f16 v94, v79, s[8:9] offset:256       // 000000007108: DD388100 00084F5E
	s_mov_b64 exec, s[36:37]                                   // 000000007110: BEFE0124
	s_mov_b64 exec, s[24:25]                                   // 000000007114: BEFE0118
	global_atomic_pk_add_f16 v96, v80, s[8:9]                  // 000000007118: DD388000 00085060
	s_mov_b64 exec, s[36:37]                                   // 000000007120: BEFE0124
	s_mov_b64 exec, s[24:25]                                   // 000000007124: BEFE0118
	global_atomic_pk_add_f16 v96, v81, s[8:9] offset:256       // 000000007128: DD388100 00085160
	s_mov_b64 exec, s[36:37]                                   // 000000007130: BEFE0124
	s_mov_b64 exec, s[26:27]                                   // 000000007134: BEFE011A
	global_atomic_pk_add_f16 v98, v82, s[8:9]                  // 000000007138: DD388000 00085262
	s_mov_b64 exec, s[36:37]                                   // 000000007140: BEFE0124
	s_mov_b64 exec, s[26:27]                                   // 000000007144: BEFE011A
	global_atomic_pk_add_f16 v98, v83, s[8:9] offset:256       // 000000007148: DD388100 00085362
	s_mov_b64 exec, s[36:37]                                   // 000000007150: BEFE0124
	s_mov_b64 exec, s[28:29]                                   // 000000007154: BEFE011C
	global_atomic_pk_add_f16 v100, v84, s[8:9]                 // 000000007158: DD388000 00085464
	s_mov_b64 exec, s[36:37]                                   // 000000007160: BEFE0124
	s_mov_b64 exec, s[28:29]                                   // 000000007164: BEFE011C
	global_atomic_pk_add_f16 v100, v85, s[8:9] offset:256      // 000000007168: DD388100 00085564
	s_mov_b64 exec, s[36:37]                                   // 000000007170: BEFE0124
	s_mov_b64 exec, s[30:31]                                   // 000000007174: BEFE011E
	global_atomic_pk_add_f16 v102, v86, s[8:9]                 // 000000007178: DD388000 00085666
	s_mov_b64 exec, s[36:37]                                   // 000000007180: BEFE0124
	s_mov_b64 exec, s[30:31]                                   // 000000007184: BEFE011E
	global_atomic_pk_add_f16 v102, v87, s[8:9] offset:256      // 000000007188: DD388100 00085766
	s_mov_b64 exec, s[36:37]                                   // 000000007190: BEFE0124
	s_mov_b64 exec, s[32:33]                                   // 000000007194: BEFE0120
	global_atomic_pk_add_f16 v104, v88, s[8:9]                 // 000000007198: DD388000 00085868
	s_mov_b64 exec, s[36:37]                                   // 0000000071A0: BEFE0124
	s_mov_b64 exec, s[32:33]                                   // 0000000071A4: BEFE0120
	global_atomic_pk_add_f16 v104, v89, s[8:9] offset:256      // 0000000071A8: DD388100 00085968
	s_mov_b64 exec, s[36:37]                                   // 0000000071B0: BEFE0124
	s_mov_b64 exec, s[34:35]                                   // 0000000071B4: BEFE0122
	global_atomic_pk_add_f16 v106, v90, s[8:9]                 // 0000000071B8: DD388000 00085A6A
	s_mov_b64 exec, s[36:37]                                   // 0000000071C0: BEFE0124
	s_mov_b64 exec, s[34:35]                                   // 0000000071C4: BEFE0122
	global_atomic_pk_add_f16 v106, v91, s[8:9] offset:256      // 0000000071C8: DD388100 00085B6A
	s_mov_b64 exec, s[36:37]                                   // 0000000071D0: BEFE0124
	s_branch label_11CC                                        // 0000000071D4: BF8200D6

00000000000071d8 <label_10F6>:
	ds_read_b32 v76, v9                                        // 0000000071D8: D86C0000 4C000009
	ds_read_b32 v77, v9 offset:4352                            // 0000000071E0: D86C1100 4D000009
	ds_read_b32 v78, v9 offset:8                               // 0000000071E8: D86C0008 4E000009
	ds_read_b32 v79, v9 offset:4360                            // 0000000071F0: D86C1108 4F000009
	ds_read_b32 v80, v9 offset:32                              // 0000000071F8: D86C0020 50000009
	ds_read_b32 v81, v9 offset:4384                            // 000000007200: D86C1120 51000009
	ds_read_b32 v82, v9 offset:40                              // 000000007208: D86C0028 52000009
	ds_read_b32 v83, v9 offset:4392                            // 000000007210: D86C1128 53000009
	ds_read_b32 v84, v9 offset:8704                            // 000000007218: D86C2200 54000009
	ds_read_b32 v85, v9 offset:13056                           // 000000007220: D86C3300 55000009
	ds_read_b32 v86, v9 offset:8712                            // 000000007228: D86C2208 56000009
	ds_read_b32 v87, v9 offset:13064                           // 000000007230: D86C3308 57000009
	ds_read_b32 v88, v9 offset:8736                            // 000000007238: D86C2220 58000009
	ds_read_b32 v89, v9 offset:13088                           // 000000007240: D86C3320 59000009
	ds_read_b32 v90, v9 offset:8744                            // 000000007248: D86C2228 5A000009
	ds_read_b32 v91, v9 offset:13096                           // 000000007250: D86C3328 5B000009
	s_waitcnt lgkmcnt(0)                                       // 000000007258: BF8CC07F
	s_mov_b64 exec, s[20:21]                                   // 00000000725C: BEFE0114
	global_atomic_pk_add_f16 v92, v76, s[8:9]                  // 000000007260: DD388000 00084C5C
	s_mov_b64 exec, s[36:37]                                   // 000000007268: BEFE0124
	s_mov_b64 exec, s[20:21]                                   // 00000000726C: BEFE0114
	global_atomic_pk_add_f16 v92, v77, s[8:9] offset:256       // 000000007270: DD388100 00084D5C
	s_mov_b64 exec, s[36:37]                                   // 000000007278: BEFE0124
	s_mov_b64 exec, s[22:23]                                   // 00000000727C: BEFE0116
	global_atomic_pk_add_f16 v94, v78, s[8:9]                  // 000000007280: DD388000 00084E5E
	s_mov_b64 exec, s[36:37]                                   // 000000007288: BEFE0124
	s_mov_b64 exec, s[22:23]                                   // 00000000728C: BEFE0116
	global_atomic_pk_add_f16 v94, v79, s[8:9] offset:256       // 000000007290: DD388100 00084F5E
	s_mov_b64 exec, s[36:37]                                   // 000000007298: BEFE0124
	s_mov_b64 exec, s[24:25]                                   // 00000000729C: BEFE0118
	global_atomic_pk_add_f16 v96, v80, s[8:9]                  // 0000000072A0: DD388000 00085060
	s_mov_b64 exec, s[36:37]                                   // 0000000072A8: BEFE0124
	s_mov_b64 exec, s[24:25]                                   // 0000000072AC: BEFE0118
	global_atomic_pk_add_f16 v96, v81, s[8:9] offset:256       // 0000000072B0: DD388100 00085160
	s_mov_b64 exec, s[36:37]                                   // 0000000072B8: BEFE0124
	s_mov_b64 exec, s[26:27]                                   // 0000000072BC: BEFE011A
	global_atomic_pk_add_f16 v98, v82, s[8:9]                  // 0000000072C0: DD388000 00085262
	s_mov_b64 exec, s[36:37]                                   // 0000000072C8: BEFE0124
	s_mov_b64 exec, s[26:27]                                   // 0000000072CC: BEFE011A
	global_atomic_pk_add_f16 v98, v83, s[8:9] offset:256       // 0000000072D0: DD388100 00085362
	s_mov_b64 exec, s[36:37]                                   // 0000000072D8: BEFE0124
	s_mov_b64 exec, s[28:29]                                   // 0000000072DC: BEFE011C
	global_atomic_pk_add_f16 v100, v84, s[8:9]                 // 0000000072E0: DD388000 00085464
	s_mov_b64 exec, s[36:37]                                   // 0000000072E8: BEFE0124
	s_mov_b64 exec, s[28:29]                                   // 0000000072EC: BEFE011C
	global_atomic_pk_add_f16 v100, v85, s[8:9] offset:256      // 0000000072F0: DD388100 00085564
	s_mov_b64 exec, s[36:37]                                   // 0000000072F8: BEFE0124
	s_mov_b64 exec, s[30:31]                                   // 0000000072FC: BEFE011E
	global_atomic_pk_add_f16 v102, v86, s[8:9]                 // 000000007300: DD388000 00085666
	s_mov_b64 exec, s[36:37]                                   // 000000007308: BEFE0124
	s_mov_b64 exec, s[30:31]                                   // 00000000730C: BEFE011E
	global_atomic_pk_add_f16 v102, v87, s[8:9] offset:256      // 000000007310: DD388100 00085766
	s_mov_b64 exec, s[36:37]                                   // 000000007318: BEFE0124
	s_mov_b64 exec, s[32:33]                                   // 00000000731C: BEFE0120
	global_atomic_pk_add_f16 v104, v88, s[8:9]                 // 000000007320: DD388000 00085868
	s_mov_b64 exec, s[36:37]                                   // 000000007328: BEFE0124
	s_mov_b64 exec, s[32:33]                                   // 00000000732C: BEFE0120
	global_atomic_pk_add_f16 v104, v89, s[8:9] offset:256      // 000000007330: DD388100 00085968
	s_mov_b64 exec, s[36:37]                                   // 000000007338: BEFE0124
	s_mov_b64 exec, s[34:35]                                   // 00000000733C: BEFE0122
	global_atomic_pk_add_f16 v106, v90, s[8:9]                 // 000000007340: DD388000 00085A6A
	s_mov_b64 exec, s[36:37]                                   // 000000007348: BEFE0124
	s_mov_b64 exec, s[34:35]                                   // 00000000734C: BEFE0122
	global_atomic_pk_add_f16 v106, v91, s[8:9] offset:256      // 000000007350: DD388100 00085B6A
	s_mov_b64 exec, s[36:37]                                   // 000000007358: BEFE0124
	s_add_u32 s8, s59, s8                                      // 00000000735C: 8008083B
	s_addc_u32 s9, 0, s9                                       // 000000007360: 82090980
	ds_write_b64 v8, v[140:141] offset:17408                   // 000000007364: D89A4400 00008C08
	ds_write_b64 v8, v[142:143] offset:26112                   // 00000000736C: D89A6600 00008E08
	ds_write_b64 v8, v[144:145] offset:17952                   // 000000007374: D89A4620 00009008
	ds_write_b64 v8, v[146:147] offset:26656                   // 00000000737C: D89A6820 00009208
	ds_write_b64 v8, v[148:149] offset:21760                   // 000000007384: D89A5500 00009408
	ds_write_b64 v8, v[150:151] offset:30464                   // 00000000738C: D89A7700 00009608
	ds_write_b64 v8, v[152:153] offset:22304                   // 000000007394: D89A5720 00009808
	ds_write_b64 v8, v[154:155] offset:31008                   // 00000000739C: D89A7920 00009A08
	s_waitcnt lgkmcnt(0)                                       // 0000000073A4: BF8CC07F
	s_barrier                                                  // 0000000073A8: BF8A0000
	ds_read_b32 v76, v9 offset:17408                           // 0000000073AC: D86C4400 4C000009
	ds_read_b32 v77, v9 offset:21760                           // 0000000073B4: D86C5500 4D000009
	ds_read_b32 v78, v9 offset:17416                           // 0000000073BC: D86C4408 4E000009
	ds_read_b32 v79, v9 offset:21768                           // 0000000073C4: D86C5508 4F000009
	ds_read_b32 v80, v9 offset:17440                           // 0000000073CC: D86C4420 50000009
	ds_read_b32 v81, v9 offset:21792                           // 0000000073D4: D86C5520 51000009
	ds_read_b32 v82, v9 offset:17448                           // 0000000073DC: D86C4428 52000009
	ds_read_b32 v83, v9 offset:21800                           // 0000000073E4: D86C5528 53000009
	ds_read_b32 v84, v9 offset:26112                           // 0000000073EC: D86C6600 54000009
	ds_read_b32 v85, v9 offset:30464                           // 0000000073F4: D86C7700 55000009
	ds_read_b32 v86, v9 offset:26120                           // 0000000073FC: D86C6608 56000009
	ds_read_b32 v87, v9 offset:30472                           // 000000007404: D86C7708 57000009
	ds_read_b32 v88, v9 offset:26144                           // 00000000740C: D86C6620 58000009
	ds_read_b32 v89, v9 offset:30496                           // 000000007414: D86C7720 59000009
	ds_read_b32 v90, v9 offset:26152                           // 00000000741C: D86C6628 5A000009
	ds_read_b32 v91, v9 offset:30504                           // 000000007424: D86C7728 5B000009
	s_waitcnt lgkmcnt(0)                                       // 00000000742C: BF8CC07F
	s_mov_b64 exec, s[20:21]                                   // 000000007430: BEFE0114
	global_atomic_pk_add_f16 v92, v76, s[8:9]                  // 000000007434: DD388000 00084C5C
	s_mov_b64 exec, s[36:37]                                   // 00000000743C: BEFE0124
	s_mov_b64 exec, s[20:21]                                   // 000000007440: BEFE0114
	global_atomic_pk_add_f16 v92, v77, s[8:9] offset:256       // 000000007444: DD388100 00084D5C
	s_mov_b64 exec, s[36:37]                                   // 00000000744C: BEFE0124
	s_mov_b64 exec, s[22:23]                                   // 000000007450: BEFE0116
	global_atomic_pk_add_f16 v94, v78, s[8:9]                  // 000000007454: DD388000 00084E5E
	s_mov_b64 exec, s[36:37]                                   // 00000000745C: BEFE0124
	s_mov_b64 exec, s[22:23]                                   // 000000007460: BEFE0116
	global_atomic_pk_add_f16 v94, v79, s[8:9] offset:256       // 000000007464: DD388100 00084F5E
	s_mov_b64 exec, s[36:37]                                   // 00000000746C: BEFE0124
	s_mov_b64 exec, s[24:25]                                   // 000000007470: BEFE0118
	global_atomic_pk_add_f16 v96, v80, s[8:9]                  // 000000007474: DD388000 00085060
	s_mov_b64 exec, s[36:37]                                   // 00000000747C: BEFE0124
	s_mov_b64 exec, s[24:25]                                   // 000000007480: BEFE0118
	global_atomic_pk_add_f16 v96, v81, s[8:9] offset:256       // 000000007484: DD388100 00085160
	s_mov_b64 exec, s[36:37]                                   // 00000000748C: BEFE0124
	s_mov_b64 exec, s[26:27]                                   // 000000007490: BEFE011A
	global_atomic_pk_add_f16 v98, v82, s[8:9]                  // 000000007494: DD388000 00085262
	s_mov_b64 exec, s[36:37]                                   // 00000000749C: BEFE0124
	s_mov_b64 exec, s[26:27]                                   // 0000000074A0: BEFE011A
	global_atomic_pk_add_f16 v98, v83, s[8:9] offset:256       // 0000000074A4: DD388100 00085362
	s_mov_b64 exec, s[36:37]                                   // 0000000074AC: BEFE0124
	s_mov_b64 exec, s[28:29]                                   // 0000000074B0: BEFE011C
	global_atomic_pk_add_f16 v100, v84, s[8:9]                 // 0000000074B4: DD388000 00085464
	s_mov_b64 exec, s[36:37]                                   // 0000000074BC: BEFE0124
	s_mov_b64 exec, s[28:29]                                   // 0000000074C0: BEFE011C
	global_atomic_pk_add_f16 v100, v85, s[8:9] offset:256      // 0000000074C4: DD388100 00085564
	s_mov_b64 exec, s[36:37]                                   // 0000000074CC: BEFE0124
	s_mov_b64 exec, s[30:31]                                   // 0000000074D0: BEFE011E
	global_atomic_pk_add_f16 v102, v86, s[8:9]                 // 0000000074D4: DD388000 00085666
	s_mov_b64 exec, s[36:37]                                   // 0000000074DC: BEFE0124
	s_mov_b64 exec, s[30:31]                                   // 0000000074E0: BEFE011E
	global_atomic_pk_add_f16 v102, v87, s[8:9] offset:256      // 0000000074E4: DD388100 00085766
	s_mov_b64 exec, s[36:37]                                   // 0000000074EC: BEFE0124
	s_mov_b64 exec, s[32:33]                                   // 0000000074F0: BEFE0120
	global_atomic_pk_add_f16 v104, v88, s[8:9]                 // 0000000074F4: DD388000 00085868
	s_mov_b64 exec, s[36:37]                                   // 0000000074FC: BEFE0124
	s_mov_b64 exec, s[32:33]                                   // 000000007500: BEFE0120
	global_atomic_pk_add_f16 v104, v89, s[8:9] offset:256      // 000000007504: DD388100 00085968
	s_mov_b64 exec, s[36:37]                                   // 00000000750C: BEFE0124
	s_mov_b64 exec, s[34:35]                                   // 000000007510: BEFE0122
	global_atomic_pk_add_f16 v106, v90, s[8:9]                 // 000000007514: DD388000 00085A6A
	s_mov_b64 exec, s[36:37]                                   // 00000000751C: BEFE0124
	s_mov_b64 exec, s[34:35]                                   // 000000007520: BEFE0122
	global_atomic_pk_add_f16 v106, v91, s[8:9] offset:256      // 000000007524: DD388100 00085B6A
	s_mov_b64 exec, s[36:37]                                   // 00000000752C: BEFE0124

0000000000007530 <label_11CC>:
	s_waitcnt vmcnt(0) expcnt(0) lgkmcnt(0)                    // 000000007530: BF8C0000
	s_add_u32 s100, s100, 1                                    // 000000007534: 80648164
	s_cmp_eq_u32 s96, 0                                        // 000000007538: BF068060
	s_cbranch_scc0 label_0039                                  // 00000000753C: BF84EE69

0000000000007540 <label_11D0>:
	s_waitcnt vmcnt(0) expcnt(0) lgkmcnt(0)                    // 000000007540: BF8C0000
	s_endpgm                                                   // 000000007544: BF810000
